;; amdgpu-corpus repo=zjin-lcf/HeCBench kind=compiled arch=gfx1250 opt=O3
	.amdgcn_target "amdgcn-amd-amdhsa--gfx1250"
	.amdhsa_code_object_version 6
	.section	.text._Z34unfold_backward_elementwise_kernelILi64ELi4EZ31unfold_backward_internal_kernelIiEvPT_PKS1_PKlllllllEUliE_EviT1_,"axG",@progbits,_Z34unfold_backward_elementwise_kernelILi64ELi4EZ31unfold_backward_internal_kernelIiEvPT_PKS1_PKlllllllEUliE_EviT1_,comdat
	.protected	_Z34unfold_backward_elementwise_kernelILi64ELi4EZ31unfold_backward_internal_kernelIiEvPT_PKS1_PKlllllllEUliE_EviT1_ ; -- Begin function _Z34unfold_backward_elementwise_kernelILi64ELi4EZ31unfold_backward_internal_kernelIiEvPT_PKS1_PKlllllllEUliE_EviT1_
	.globl	_Z34unfold_backward_elementwise_kernelILi64ELi4EZ31unfold_backward_internal_kernelIiEvPT_PKS1_PKlllllllEUliE_EviT1_
	.p2align	8
	.type	_Z34unfold_backward_elementwise_kernelILi64ELi4EZ31unfold_backward_internal_kernelIiEvPT_PKS1_PKlllllllEUliE_EviT1_,@function
_Z34unfold_backward_elementwise_kernelILi64ELi4EZ31unfold_backward_internal_kernelIiEvPT_PKS1_PKlllllllEUliE_EviT1_: ; @_Z34unfold_backward_elementwise_kernelILi64ELi4EZ31unfold_backward_internal_kernelIiEvPT_PKS1_PKlllllllEUliE_EviT1_
; %bb.0:
	s_clause 0x1
	s_load_b32 s26, s[0:1], 0x0
	s_load_b512 s[4:19], s[0:1], 0x8
	s_wait_xcnt 0x0
	s_bfe_u32 s0, ttmp6, 0x4000c
	s_and_b32 s1, ttmp6, 15
	s_add_co_i32 s0, s0, 1
	s_getreg_b32 s2, hwreg(HW_REG_IB_STS2, 6, 4)
	s_mul_i32 s0, ttmp9, s0
	s_mov_b32 s27, exec_lo
	s_add_co_i32 s1, s1, s0
	s_cmp_eq_u32 s2, 0
	s_cselect_b32 s0, ttmp9, s1
	s_delay_alu instid0(SALU_CYCLE_1) | instskip(SKIP_2) | instid1(VALU_DEP_1)
	v_lshl_add_u32 v0, s0, 8, v0
	s_wait_kmcnt 0x0
	s_add_nc_u64 s[0:1], s[14:15], -1
	v_cmpx_gt_i32_e64 s26, v0
	s_cbranch_execnz .LBB0_4
; %bb.1:
	s_or_b32 exec_lo, exec_lo, s27
	s_delay_alu instid0(SALU_CYCLE_1)
	s_mov_b32 s27, exec_lo
	v_cmpx_gt_i32_e64 s26, v0
	s_cbranch_execnz .LBB0_15
.LBB0_2:
	s_or_b32 exec_lo, exec_lo, s27
	s_delay_alu instid0(SALU_CYCLE_1)
	s_mov_b32 s27, exec_lo
	v_cmpx_gt_i32_e64 s26, v0
	s_cbranch_execnz .LBB0_26
.LBB0_3:
	s_or_b32 exec_lo, exec_lo, s27
	s_delay_alu instid0(SALU_CYCLE_1)
	s_mov_b32 s2, exec_lo
	v_cmpx_gt_i32_e64 s26, v0
	s_cbranch_execnz .LBB0_37
	s_branch .LBB0_47
.LBB0_4:
	s_load_b64 s[2:3], s[8:9], 0x0
	s_wait_kmcnt 0x0
	v_cmp_le_i64_e64 s14, s[2:3], s[10:11]
	s_and_b32 vcc_lo, exec_lo, s14
	s_mov_b64 s[14:15], 0
	s_cbranch_vccnz .LBB0_8
; %bb.5:
	s_sub_nc_u64 s[20:21], s[2:3], s[10:11]
	s_delay_alu instid0(SALU_CYCLE_1) | instskip(NEXT) | instid1(SALU_CYCLE_1)
	s_or_b64 s[14:15], s[20:21], s[12:13]
	s_and_b64 s[14:15], s[14:15], 0xffffffff00000000
	s_delay_alu instid0(SALU_CYCLE_1)
	s_cmp_lg_u64 s[14:15], 0
	s_cbranch_scc0 .LBB0_52
; %bb.6:
	s_ashr_i32 s14, s13, 31
	s_delay_alu instid0(SALU_CYCLE_1) | instskip(NEXT) | instid1(SALU_CYCLE_1)
	s_mov_b32 s15, s14
	s_add_nc_u64 s[22:23], s[12:13], s[14:15]
	s_delay_alu instid0(SALU_CYCLE_1) | instskip(NEXT) | instid1(SALU_CYCLE_1)
	s_xor_b64 s[22:23], s[22:23], s[14:15]
	s_cvt_f32_u32 s24, s22
	s_cvt_f32_u32 s25, s23
	s_sub_nc_u64 s[30:31], 0, s[22:23]
	s_delay_alu instid0(SALU_CYCLE_2) | instskip(NEXT) | instid1(SALU_CYCLE_3)
	s_fmamk_f32 s24, s25, 0x4f800000, s24
	v_s_rcp_f32 s24, s24
	s_delay_alu instid0(TRANS32_DEP_1) | instskip(NEXT) | instid1(SALU_CYCLE_3)
	s_mul_f32 s24, s24, 0x5f7ffffc
	s_mul_f32 s25, s24, 0x2f800000
	s_delay_alu instid0(SALU_CYCLE_3) | instskip(NEXT) | instid1(SALU_CYCLE_3)
	s_trunc_f32 s25, s25
	s_fmamk_f32 s24, s25, 0xcf800000, s24
	s_cvt_u32_f32 s29, s25
	s_mov_b32 s25, 0
	s_delay_alu instid0(SALU_CYCLE_1) | instskip(NEXT) | instid1(SALU_CYCLE_3)
	s_cvt_u32_f32 s28, s24
	s_mul_u64 s[34:35], s[30:31], s[28:29]
	s_delay_alu instid0(SALU_CYCLE_1)
	s_mul_hi_u32 s37, s28, s35
	s_mul_i32 s36, s28, s35
	s_mul_hi_u32 s24, s28, s34
	s_mul_i32 s38, s29, s34
	s_add_nc_u64 s[36:37], s[24:25], s[36:37]
	s_mul_hi_u32 s33, s29, s34
	s_mul_hi_u32 s39, s29, s35
	s_add_co_u32 s24, s36, s38
	s_add_co_ci_u32 s24, s37, s33
	s_mul_i32 s34, s29, s35
	s_add_co_ci_u32 s35, s39, 0
	s_delay_alu instid0(SALU_CYCLE_1) | instskip(NEXT) | instid1(SALU_CYCLE_1)
	s_add_nc_u64 s[34:35], s[24:25], s[34:35]
	s_add_co_u32 s28, s28, s34
	s_cselect_b32 s24, -1, 0
	s_delay_alu instid0(SALU_CYCLE_1) | instskip(SKIP_1) | instid1(SALU_CYCLE_1)
	s_cmp_lg_u32 s24, 0
	s_add_co_ci_u32 s29, s29, s35
	s_mul_u64 s[30:31], s[30:31], s[28:29]
	s_delay_alu instid0(SALU_CYCLE_1)
	s_mul_hi_u32 s35, s28, s31
	s_mul_i32 s34, s28, s31
	s_mul_hi_u32 s24, s28, s30
	s_mul_i32 s36, s29, s30
	s_add_nc_u64 s[34:35], s[24:25], s[34:35]
	s_mul_hi_u32 s33, s29, s30
	s_mul_hi_u32 s37, s29, s31
	s_add_co_u32 s24, s34, s36
	s_add_co_ci_u32 s24, s35, s33
	s_mul_i32 s30, s29, s31
	s_add_co_ci_u32 s31, s37, 0
	s_delay_alu instid0(SALU_CYCLE_1) | instskip(NEXT) | instid1(SALU_CYCLE_1)
	s_add_nc_u64 s[30:31], s[24:25], s[30:31]
	s_add_co_u32 s33, s28, s30
	s_cselect_b32 s24, -1, 0
	s_delay_alu instid0(SALU_CYCLE_1) | instskip(SKIP_2) | instid1(SALU_CYCLE_1)
	s_cmp_lg_u32 s24, 0
	s_add_co_ci_u32 s36, s29, s31
	s_ashr_i32 s28, s21, 31
	s_mov_b32 s29, s28
	s_delay_alu instid0(SALU_CYCLE_1) | instskip(NEXT) | instid1(SALU_CYCLE_1)
	s_add_nc_u64 s[30:31], s[20:21], s[28:29]
	s_xor_b64 s[30:31], s[30:31], s[28:29]
	s_delay_alu instid0(SALU_CYCLE_1)
	s_mul_hi_u32 s35, s30, s36
	s_mul_i32 s34, s30, s36
	s_mul_hi_u32 s24, s30, s33
	s_mul_hi_u32 s37, s31, s33
	s_mul_i32 s33, s31, s33
	s_add_nc_u64 s[34:35], s[24:25], s[34:35]
	s_mul_hi_u32 s21, s31, s36
	s_add_co_u32 s24, s34, s33
	s_add_co_ci_u32 s24, s35, s37
	s_mul_i32 s36, s31, s36
	s_add_co_ci_u32 s37, s21, 0
	s_delay_alu instid0(SALU_CYCLE_1) | instskip(NEXT) | instid1(SALU_CYCLE_1)
	s_add_nc_u64 s[34:35], s[24:25], s[36:37]
	s_and_b64 s[36:37], s[34:35], 0xffffffff00000000
	s_delay_alu instid0(SALU_CYCLE_1) | instskip(NEXT) | instid1(SALU_CYCLE_1)
	s_or_b32 s36, s36, s34
	s_mul_u64 s[34:35], s[22:23], s[36:37]
	s_add_nc_u64 s[38:39], s[36:37], 1
	s_sub_co_u32 s21, s30, s34
	s_cselect_b32 s24, -1, 0
	s_sub_co_i32 s30, s31, s35
	s_cmp_lg_u32 s24, 0
	s_add_nc_u64 s[40:41], s[36:37], 2
	s_sub_co_ci_u32 s30, s30, s23
	s_sub_co_u32 s33, s21, s22
	s_cselect_b32 s34, -1, 0
	s_delay_alu instid0(SALU_CYCLE_1) | instskip(SKIP_1) | instid1(SALU_CYCLE_1)
	s_cmp_lg_u32 s34, 0
	s_sub_co_ci_u32 s30, s30, 0
	s_cmp_ge_u32 s30, s23
	s_cselect_b32 s34, -1, 0
	s_cmp_ge_u32 s33, s22
	s_cselect_b32 s33, -1, 0
	s_cmp_eq_u32 s30, s23
	s_cselect_b32 s30, s33, s34
	s_delay_alu instid0(SALU_CYCLE_1) | instskip(SKIP_4) | instid1(SALU_CYCLE_1)
	s_cmp_lg_u32 s30, 0
	s_cselect_b32 s30, s40, s38
	s_cselect_b32 s33, s41, s39
	s_cmp_lg_u32 s24, 0
	s_sub_co_ci_u32 s24, s31, s35
	s_cmp_ge_u32 s24, s23
	s_cselect_b32 s31, -1, 0
	s_cmp_ge_u32 s21, s22
	s_cselect_b32 s21, -1, 0
	s_cmp_eq_u32 s24, s23
	s_cselect_b32 s21, s21, s31
	s_delay_alu instid0(SALU_CYCLE_1) | instskip(SKIP_3) | instid1(SALU_CYCLE_1)
	s_cmp_lg_u32 s21, 0
	s_cselect_b32 s23, s33, s37
	s_cselect_b32 s22, s30, s36
	s_xor_b64 s[14:15], s[28:29], s[14:15]
	s_xor_b64 s[22:23], s[22:23], s[14:15]
	s_delay_alu instid0(SALU_CYCLE_1)
	s_sub_nc_u64 s[14:15], s[22:23], s[14:15]
	s_cbranch_execnz .LBB0_8
.LBB0_7:
	v_cvt_f32_u32_e32 v1, s12
	s_sub_co_i32 s15, 0, s12
	s_delay_alu instid0(VALU_DEP_1) | instskip(SKIP_1) | instid1(TRANS32_DEP_1)
	v_rcp_iflag_f32_e32 v1, v1
	v_nop
	v_mul_f32_e32 v1, 0x4f7ffffe, v1
	s_delay_alu instid0(VALU_DEP_1) | instskip(NEXT) | instid1(VALU_DEP_1)
	v_cvt_u32_f32_e32 v1, v1
	v_readfirstlane_b32 s14, v1
	s_mul_i32 s15, s15, s14
	s_delay_alu instid0(SALU_CYCLE_1) | instskip(NEXT) | instid1(SALU_CYCLE_1)
	s_mul_hi_u32 s15, s14, s15
	s_add_co_i32 s14, s14, s15
	s_delay_alu instid0(SALU_CYCLE_1) | instskip(NEXT) | instid1(SALU_CYCLE_1)
	s_mul_hi_u32 s14, s20, s14
	s_mul_i32 s15, s14, s12
	s_delay_alu instid0(SALU_CYCLE_1)
	s_sub_co_i32 s15, s20, s15
	s_add_co_i32 s20, s14, 1
	s_sub_co_i32 s21, s15, s12
	s_cmp_ge_u32 s15, s12
	s_cselect_b32 s14, s20, s14
	s_cselect_b32 s15, s21, s15
	s_add_co_i32 s20, s14, 1
	s_cmp_ge_u32 s15, s12
	s_mov_b32 s15, 0
	s_cselect_b32 s14, s20, s14
.LBB0_8:
	s_or_b64 s[20:21], s[2:3], s[12:13]
	s_delay_alu instid0(SALU_CYCLE_1) | instskip(NEXT) | instid1(SALU_CYCLE_1)
	s_and_b64 s[20:21], s[20:21], 0xffffffff00000000
	s_cmp_lg_u64 s[20:21], 0
	s_cbranch_scc0 .LBB0_48
; %bb.9:
	s_ashr_i32 s20, s13, 31
	s_delay_alu instid0(SALU_CYCLE_1) | instskip(NEXT) | instid1(SALU_CYCLE_1)
	s_mov_b32 s21, s20
	s_add_nc_u64 s[22:23], s[12:13], s[20:21]
	s_delay_alu instid0(SALU_CYCLE_1) | instskip(NEXT) | instid1(SALU_CYCLE_1)
	s_xor_b64 s[22:23], s[22:23], s[20:21]
	s_cvt_f32_u32 s24, s22
	s_cvt_f32_u32 s25, s23
	s_sub_nc_u64 s[30:31], 0, s[22:23]
	s_delay_alu instid0(SALU_CYCLE_2) | instskip(NEXT) | instid1(SALU_CYCLE_3)
	s_fmamk_f32 s24, s25, 0x4f800000, s24
	v_s_rcp_f32 s24, s24
	s_delay_alu instid0(TRANS32_DEP_1) | instskip(NEXT) | instid1(SALU_CYCLE_3)
	s_mul_f32 s24, s24, 0x5f7ffffc
	s_mul_f32 s25, s24, 0x2f800000
	s_delay_alu instid0(SALU_CYCLE_3) | instskip(NEXT) | instid1(SALU_CYCLE_3)
	s_trunc_f32 s25, s25
	s_fmamk_f32 s24, s25, 0xcf800000, s24
	s_cvt_u32_f32 s29, s25
	s_mov_b32 s25, 0
	s_delay_alu instid0(SALU_CYCLE_1) | instskip(NEXT) | instid1(SALU_CYCLE_3)
	s_cvt_u32_f32 s28, s24
	s_mul_u64 s[34:35], s[30:31], s[28:29]
	s_delay_alu instid0(SALU_CYCLE_1)
	s_mul_hi_u32 s37, s28, s35
	s_mul_i32 s36, s28, s35
	s_mul_hi_u32 s24, s28, s34
	s_mul_i32 s38, s29, s34
	s_add_nc_u64 s[36:37], s[24:25], s[36:37]
	s_mul_hi_u32 s33, s29, s34
	s_mul_hi_u32 s39, s29, s35
	s_add_co_u32 s24, s36, s38
	s_add_co_ci_u32 s24, s37, s33
	s_mul_i32 s34, s29, s35
	s_add_co_ci_u32 s35, s39, 0
	s_delay_alu instid0(SALU_CYCLE_1) | instskip(NEXT) | instid1(SALU_CYCLE_1)
	s_add_nc_u64 s[34:35], s[24:25], s[34:35]
	s_add_co_u32 s28, s28, s34
	s_cselect_b32 s24, -1, 0
	s_delay_alu instid0(SALU_CYCLE_1) | instskip(SKIP_1) | instid1(SALU_CYCLE_1)
	s_cmp_lg_u32 s24, 0
	s_add_co_ci_u32 s29, s29, s35
	s_mul_u64 s[30:31], s[30:31], s[28:29]
	s_delay_alu instid0(SALU_CYCLE_1)
	s_mul_hi_u32 s35, s28, s31
	s_mul_i32 s34, s28, s31
	s_mul_hi_u32 s24, s28, s30
	s_mul_i32 s36, s29, s30
	s_add_nc_u64 s[34:35], s[24:25], s[34:35]
	s_mul_hi_u32 s33, s29, s30
	s_mul_hi_u32 s37, s29, s31
	s_add_co_u32 s24, s34, s36
	s_add_co_ci_u32 s24, s35, s33
	s_mul_i32 s30, s29, s31
	s_add_co_ci_u32 s31, s37, 0
	s_delay_alu instid0(SALU_CYCLE_1) | instskip(NEXT) | instid1(SALU_CYCLE_1)
	s_add_nc_u64 s[30:31], s[24:25], s[30:31]
	s_add_co_u32 s33, s28, s30
	s_cselect_b32 s24, -1, 0
	s_delay_alu instid0(SALU_CYCLE_1) | instskip(SKIP_2) | instid1(SALU_CYCLE_1)
	s_cmp_lg_u32 s24, 0
	s_add_co_ci_u32 s36, s29, s31
	s_ashr_i32 s28, s3, 31
	s_mov_b32 s29, s28
	s_delay_alu instid0(SALU_CYCLE_1) | instskip(NEXT) | instid1(SALU_CYCLE_1)
	s_add_nc_u64 s[30:31], s[2:3], s[28:29]
	s_xor_b64 s[30:31], s[30:31], s[28:29]
	s_delay_alu instid0(SALU_CYCLE_1)
	s_mul_hi_u32 s35, s30, s36
	s_mul_i32 s34, s30, s36
	s_mul_hi_u32 s24, s30, s33
	s_mul_hi_u32 s38, s31, s33
	s_mul_i32 s33, s31, s33
	s_add_nc_u64 s[34:35], s[24:25], s[34:35]
	s_mul_hi_u32 s37, s31, s36
	s_add_co_u32 s24, s34, s33
	s_add_co_ci_u32 s24, s35, s38
	s_mul_i32 s36, s31, s36
	s_add_co_ci_u32 s37, s37, 0
	s_delay_alu instid0(SALU_CYCLE_1) | instskip(NEXT) | instid1(SALU_CYCLE_1)
	s_add_nc_u64 s[34:35], s[24:25], s[36:37]
	s_and_b64 s[36:37], s[34:35], 0xffffffff00000000
	s_delay_alu instid0(SALU_CYCLE_1) | instskip(NEXT) | instid1(SALU_CYCLE_1)
	s_or_b32 s36, s36, s34
	s_mul_u64 s[34:35], s[22:23], s[36:37]
	s_delay_alu instid0(SALU_CYCLE_1)
	s_sub_co_u32 s24, s30, s34
	s_cselect_b32 s30, -1, 0
	s_sub_co_i32 s33, s31, s35
	s_cmp_lg_u32 s30, 0
	s_sub_co_ci_u32 s33, s33, s23
	s_sub_co_u32 s34, s24, s22
	s_cselect_b32 s38, -1, 0
	s_delay_alu instid0(SALU_CYCLE_1) | instskip(SKIP_2) | instid1(SALU_CYCLE_1)
	s_cmp_lg_u32 s38, 0
	s_add_nc_u64 s[38:39], s[36:37], 1
	s_sub_co_ci_u32 s33, s33, 0
	s_cmp_ge_u32 s33, s23
	s_cselect_b32 s40, -1, 0
	s_cmp_ge_u32 s34, s22
	s_cselect_b32 s34, -1, 0
	s_cmp_eq_u32 s33, s23
	s_cselect_b32 s33, s34, s40
	s_add_nc_u64 s[40:41], s[36:37], 2
	s_cmp_lg_u32 s33, 0
	s_cselect_b32 s33, s40, s38
	s_cselect_b32 s34, s41, s39
	s_cmp_lg_u32 s30, 0
	s_sub_co_ci_u32 s30, s31, s35
	s_delay_alu instid0(SALU_CYCLE_1)
	s_cmp_ge_u32 s30, s23
	s_cselect_b32 s31, -1, 0
	s_cmp_ge_u32 s24, s22
	s_cselect_b32 s22, -1, 0
	s_cmp_eq_u32 s30, s23
	s_cselect_b32 s22, s22, s31
	s_delay_alu instid0(SALU_CYCLE_1) | instskip(SKIP_3) | instid1(SALU_CYCLE_1)
	s_cmp_lg_u32 s22, 0
	s_cselect_b32 s23, s34, s37
	s_cselect_b32 s22, s33, s36
	s_xor_b64 s[20:21], s[28:29], s[20:21]
	s_xor_b64 s[22:23], s[22:23], s[20:21]
	s_delay_alu instid0(SALU_CYCLE_1)
	s_sub_nc_u64 s[20:21], s[22:23], s[20:21]
	s_cbranch_execnz .LBB0_11
.LBB0_10:
	v_cvt_f32_u32_e32 v1, s12
	s_sub_co_i32 s21, 0, s12
	s_delay_alu instid0(VALU_DEP_1) | instskip(SKIP_1) | instid1(TRANS32_DEP_1)
	v_rcp_iflag_f32_e32 v1, v1
	v_nop
	v_mul_f32_e32 v1, 0x4f7ffffe, v1
	s_delay_alu instid0(VALU_DEP_1) | instskip(NEXT) | instid1(VALU_DEP_1)
	v_cvt_u32_f32_e32 v1, v1
	v_readfirstlane_b32 s20, v1
	s_mul_i32 s21, s21, s20
	s_delay_alu instid0(SALU_CYCLE_1) | instskip(NEXT) | instid1(SALU_CYCLE_1)
	s_mul_hi_u32 s21, s20, s21
	s_add_co_i32 s20, s20, s21
	s_delay_alu instid0(SALU_CYCLE_1) | instskip(NEXT) | instid1(SALU_CYCLE_1)
	s_mul_hi_u32 s20, s2, s20
	s_mul_i32 s21, s20, s12
	s_add_co_i32 s22, s20, 1
	s_sub_co_i32 s21, s2, s21
	s_delay_alu instid0(SALU_CYCLE_1)
	s_sub_co_i32 s23, s21, s12
	s_cmp_ge_u32 s21, s12
	s_cselect_b32 s20, s22, s20
	s_cselect_b32 s21, s23, s21
	s_add_co_i32 s22, s20, 1
	s_cmp_ge_u32 s21, s12
	s_mov_b32 s21, 0
	s_cselect_b32 s20, s22, s20
.LBB0_11:
	s_delay_alu instid0(SALU_CYCLE_1) | instskip(SKIP_1) | instid1(SALU_CYCLE_1)
	v_min_i64 v[2:3], s[20:21], s[0:1]
	s_mul_u64 s[20:21], s[14:15], s[12:13]
	s_add_nc_u64 s[22:23], s[20:21], s[10:11]
	v_cmp_gt_i64_e64 s20, s[20:21], s[2:3]
	v_cmp_ge_i64_e64 s21, s[2:3], s[22:23]
	s_or_b32 s20, s20, s21
	s_mov_b32 s21, 0
	v_cndmask_b32_e64 v1, 0, 1, s20
	s_delay_alu instid0(VALU_DEP_1) | instskip(SKIP_1) | instid1(SALU_CYCLE_1)
	v_readfirstlane_b32 s20, v1
	s_add_nc_u64 s[14:15], s[14:15], s[20:21]
	v_cmp_gt_i64_e32 vcc_lo, s[14:15], v[2:3]
	s_cbranch_vccnz .LBB0_14
; %bb.12:
	global_load_b32 v8, v0, s[4:5] scale_offset
	v_ashrrev_i32_e32 v1, 31, v0
	s_mul_u64 s[20:21], s[12:13], s[14:15]
	s_delay_alu instid0(SALU_CYCLE_1)
	s_sub_nc_u64 s[2:3], s[2:3], s[20:21]
	s_mul_u64 s[20:21], s[16:17], s[14:15]
	s_mul_u64 s[2:3], s[18:19], s[2:3]
	v_lshlrev_b64_e32 v[6:7], 2, v[0:1]
	s_lshl_b64 s[2:3], s[2:3], 2
	s_lshl_b64 s[20:21], s[20:21], 2
	s_delay_alu instid0(SALU_CYCLE_1) | instskip(SKIP_2) | instid1(VALU_DEP_1)
	s_add_nc_u64 s[2:3], s[2:3], s[20:21]
	s_lshl_b64 s[20:21], s[16:17], 2
	s_add_nc_u64 s[2:3], s[6:7], s[2:3]
	v_add_nc_u64_e32 v[4:5], s[4:5], v[6:7]
	v_add_nc_u64_e32 v[6:7], s[2:3], v[6:7]
	s_mul_u64 s[2:3], s[12:13], s[18:19]
	s_delay_alu instid0(SALU_CYCLE_1)
	s_lshl_b64 s[22:23], s[2:3], 2
	s_add_nc_u64 s[2:3], s[14:15], -1
	s_sub_nc_u64 s[14:15], s[20:21], s[22:23]
.LBB0_13:                               ; =>This Inner Loop Header: Depth=1
	global_load_b32 v1, v[6:7], off
	s_add_nc_u64 s[2:3], s[2:3], 1
	s_wait_xcnt 0x0
	v_add_nc_u64_e32 v[6:7], s[14:15], v[6:7]
	v_cmp_lt_i64_e32 vcc_lo, s[2:3], v[2:3]
	s_wait_loadcnt 0x0
	v_add_nc_u32_e32 v8, v1, v8
	global_store_b32 v[4:5], v8, off
	s_cbranch_vccnz .LBB0_13
.LBB0_14:
	v_add_nc_u32_e32 v0, 64, v0
	s_wait_xcnt 0x0
	s_or_b32 exec_lo, exec_lo, s27
	s_delay_alu instid0(SALU_CYCLE_1) | instskip(NEXT) | instid1(VALU_DEP_1)
	s_mov_b32 s27, exec_lo
	v_cmpx_gt_i32_e64 s26, v0
	s_cbranch_execz .LBB0_2
.LBB0_15:
	s_load_b64 s[2:3], s[8:9], 0x0
	s_wait_kmcnt 0x0
	v_cmp_le_i64_e64 s14, s[2:3], s[10:11]
	s_and_b32 vcc_lo, exec_lo, s14
	s_mov_b64 s[14:15], 0
	s_cbranch_vccnz .LBB0_19
; %bb.16:
	s_sub_nc_u64 s[20:21], s[2:3], s[10:11]
	s_delay_alu instid0(SALU_CYCLE_1) | instskip(NEXT) | instid1(SALU_CYCLE_1)
	s_or_b64 s[14:15], s[20:21], s[12:13]
	s_and_b64 s[14:15], s[14:15], 0xffffffff00000000
	s_delay_alu instid0(SALU_CYCLE_1)
	s_cmp_lg_u64 s[14:15], 0
	s_cbranch_scc0 .LBB0_53
; %bb.17:
	s_ashr_i32 s14, s13, 31
	s_delay_alu instid0(SALU_CYCLE_1) | instskip(NEXT) | instid1(SALU_CYCLE_1)
	s_mov_b32 s15, s14
	s_add_nc_u64 s[22:23], s[12:13], s[14:15]
	s_delay_alu instid0(SALU_CYCLE_1) | instskip(NEXT) | instid1(SALU_CYCLE_1)
	s_xor_b64 s[22:23], s[22:23], s[14:15]
	s_cvt_f32_u32 s24, s22
	s_cvt_f32_u32 s25, s23
	s_sub_nc_u64 s[30:31], 0, s[22:23]
	s_delay_alu instid0(SALU_CYCLE_2) | instskip(NEXT) | instid1(SALU_CYCLE_3)
	s_fmamk_f32 s24, s25, 0x4f800000, s24
	v_s_rcp_f32 s24, s24
	s_delay_alu instid0(TRANS32_DEP_1) | instskip(NEXT) | instid1(SALU_CYCLE_3)
	s_mul_f32 s24, s24, 0x5f7ffffc
	s_mul_f32 s25, s24, 0x2f800000
	s_delay_alu instid0(SALU_CYCLE_3) | instskip(NEXT) | instid1(SALU_CYCLE_3)
	s_trunc_f32 s25, s25
	s_fmamk_f32 s24, s25, 0xcf800000, s24
	s_cvt_u32_f32 s29, s25
	s_mov_b32 s25, 0
	s_delay_alu instid0(SALU_CYCLE_1) | instskip(NEXT) | instid1(SALU_CYCLE_3)
	s_cvt_u32_f32 s28, s24
	s_mul_u64 s[34:35], s[30:31], s[28:29]
	s_delay_alu instid0(SALU_CYCLE_1)
	s_mul_hi_u32 s37, s28, s35
	s_mul_i32 s36, s28, s35
	s_mul_hi_u32 s24, s28, s34
	s_mul_i32 s38, s29, s34
	s_add_nc_u64 s[36:37], s[24:25], s[36:37]
	s_mul_hi_u32 s33, s29, s34
	s_mul_hi_u32 s39, s29, s35
	s_add_co_u32 s24, s36, s38
	s_add_co_ci_u32 s24, s37, s33
	s_mul_i32 s34, s29, s35
	s_add_co_ci_u32 s35, s39, 0
	s_delay_alu instid0(SALU_CYCLE_1) | instskip(NEXT) | instid1(SALU_CYCLE_1)
	s_add_nc_u64 s[34:35], s[24:25], s[34:35]
	s_add_co_u32 s28, s28, s34
	s_cselect_b32 s24, -1, 0
	s_delay_alu instid0(SALU_CYCLE_1) | instskip(SKIP_1) | instid1(SALU_CYCLE_1)
	s_cmp_lg_u32 s24, 0
	s_add_co_ci_u32 s29, s29, s35
	s_mul_u64 s[30:31], s[30:31], s[28:29]
	s_delay_alu instid0(SALU_CYCLE_1)
	s_mul_hi_u32 s35, s28, s31
	s_mul_i32 s34, s28, s31
	s_mul_hi_u32 s24, s28, s30
	s_mul_i32 s36, s29, s30
	s_add_nc_u64 s[34:35], s[24:25], s[34:35]
	s_mul_hi_u32 s33, s29, s30
	s_mul_hi_u32 s37, s29, s31
	s_add_co_u32 s24, s34, s36
	s_add_co_ci_u32 s24, s35, s33
	s_mul_i32 s30, s29, s31
	s_add_co_ci_u32 s31, s37, 0
	s_delay_alu instid0(SALU_CYCLE_1) | instskip(NEXT) | instid1(SALU_CYCLE_1)
	s_add_nc_u64 s[30:31], s[24:25], s[30:31]
	s_add_co_u32 s33, s28, s30
	s_cselect_b32 s24, -1, 0
	s_delay_alu instid0(SALU_CYCLE_1) | instskip(SKIP_2) | instid1(SALU_CYCLE_1)
	s_cmp_lg_u32 s24, 0
	s_add_co_ci_u32 s36, s29, s31
	s_ashr_i32 s28, s21, 31
	s_mov_b32 s29, s28
	s_delay_alu instid0(SALU_CYCLE_1) | instskip(NEXT) | instid1(SALU_CYCLE_1)
	s_add_nc_u64 s[30:31], s[20:21], s[28:29]
	s_xor_b64 s[30:31], s[30:31], s[28:29]
	s_delay_alu instid0(SALU_CYCLE_1)
	s_mul_hi_u32 s35, s30, s36
	s_mul_i32 s34, s30, s36
	s_mul_hi_u32 s24, s30, s33
	s_mul_hi_u32 s37, s31, s33
	s_mul_i32 s33, s31, s33
	s_add_nc_u64 s[34:35], s[24:25], s[34:35]
	s_mul_hi_u32 s21, s31, s36
	s_add_co_u32 s24, s34, s33
	s_add_co_ci_u32 s24, s35, s37
	s_mul_i32 s36, s31, s36
	s_add_co_ci_u32 s37, s21, 0
	s_delay_alu instid0(SALU_CYCLE_1) | instskip(NEXT) | instid1(SALU_CYCLE_1)
	s_add_nc_u64 s[34:35], s[24:25], s[36:37]
	s_and_b64 s[36:37], s[34:35], 0xffffffff00000000
	s_delay_alu instid0(SALU_CYCLE_1) | instskip(NEXT) | instid1(SALU_CYCLE_1)
	s_or_b32 s36, s36, s34
	s_mul_u64 s[34:35], s[22:23], s[36:37]
	s_add_nc_u64 s[38:39], s[36:37], 1
	s_sub_co_u32 s21, s30, s34
	s_cselect_b32 s24, -1, 0
	s_sub_co_i32 s30, s31, s35
	s_cmp_lg_u32 s24, 0
	s_add_nc_u64 s[40:41], s[36:37], 2
	s_sub_co_ci_u32 s30, s30, s23
	s_sub_co_u32 s33, s21, s22
	s_cselect_b32 s34, -1, 0
	s_delay_alu instid0(SALU_CYCLE_1) | instskip(SKIP_1) | instid1(SALU_CYCLE_1)
	s_cmp_lg_u32 s34, 0
	s_sub_co_ci_u32 s30, s30, 0
	s_cmp_ge_u32 s30, s23
	s_cselect_b32 s34, -1, 0
	s_cmp_ge_u32 s33, s22
	s_cselect_b32 s33, -1, 0
	s_cmp_eq_u32 s30, s23
	s_cselect_b32 s30, s33, s34
	s_delay_alu instid0(SALU_CYCLE_1) | instskip(SKIP_4) | instid1(SALU_CYCLE_1)
	s_cmp_lg_u32 s30, 0
	s_cselect_b32 s30, s40, s38
	s_cselect_b32 s33, s41, s39
	s_cmp_lg_u32 s24, 0
	s_sub_co_ci_u32 s24, s31, s35
	s_cmp_ge_u32 s24, s23
	s_cselect_b32 s31, -1, 0
	s_cmp_ge_u32 s21, s22
	s_cselect_b32 s21, -1, 0
	s_cmp_eq_u32 s24, s23
	s_cselect_b32 s21, s21, s31
	s_delay_alu instid0(SALU_CYCLE_1) | instskip(SKIP_3) | instid1(SALU_CYCLE_1)
	s_cmp_lg_u32 s21, 0
	s_cselect_b32 s23, s33, s37
	s_cselect_b32 s22, s30, s36
	s_xor_b64 s[14:15], s[28:29], s[14:15]
	s_xor_b64 s[22:23], s[22:23], s[14:15]
	s_delay_alu instid0(SALU_CYCLE_1)
	s_sub_nc_u64 s[14:15], s[22:23], s[14:15]
	s_cbranch_execnz .LBB0_19
.LBB0_18:
	v_cvt_f32_u32_e32 v1, s12
	s_sub_co_i32 s15, 0, s12
	s_delay_alu instid0(VALU_DEP_1) | instskip(SKIP_1) | instid1(TRANS32_DEP_1)
	v_rcp_iflag_f32_e32 v1, v1
	v_nop
	v_mul_f32_e32 v1, 0x4f7ffffe, v1
	s_delay_alu instid0(VALU_DEP_1) | instskip(NEXT) | instid1(VALU_DEP_1)
	v_cvt_u32_f32_e32 v1, v1
	v_readfirstlane_b32 s14, v1
	s_mul_i32 s15, s15, s14
	s_delay_alu instid0(SALU_CYCLE_1) | instskip(NEXT) | instid1(SALU_CYCLE_1)
	s_mul_hi_u32 s15, s14, s15
	s_add_co_i32 s14, s14, s15
	s_delay_alu instid0(SALU_CYCLE_1) | instskip(NEXT) | instid1(SALU_CYCLE_1)
	s_mul_hi_u32 s14, s20, s14
	s_mul_i32 s15, s14, s12
	s_delay_alu instid0(SALU_CYCLE_1)
	s_sub_co_i32 s15, s20, s15
	s_add_co_i32 s20, s14, 1
	s_sub_co_i32 s21, s15, s12
	s_cmp_ge_u32 s15, s12
	s_cselect_b32 s14, s20, s14
	s_cselect_b32 s15, s21, s15
	s_add_co_i32 s20, s14, 1
	s_cmp_ge_u32 s15, s12
	s_mov_b32 s15, 0
	s_cselect_b32 s14, s20, s14
.LBB0_19:
	s_or_b64 s[20:21], s[2:3], s[12:13]
	s_delay_alu instid0(SALU_CYCLE_1) | instskip(NEXT) | instid1(SALU_CYCLE_1)
	s_and_b64 s[20:21], s[20:21], 0xffffffff00000000
	s_cmp_lg_u64 s[20:21], 0
	s_cbranch_scc0 .LBB0_49
; %bb.20:
	s_ashr_i32 s20, s13, 31
	s_delay_alu instid0(SALU_CYCLE_1) | instskip(NEXT) | instid1(SALU_CYCLE_1)
	s_mov_b32 s21, s20
	s_add_nc_u64 s[22:23], s[12:13], s[20:21]
	s_delay_alu instid0(SALU_CYCLE_1) | instskip(NEXT) | instid1(SALU_CYCLE_1)
	s_xor_b64 s[22:23], s[22:23], s[20:21]
	s_cvt_f32_u32 s24, s22
	s_cvt_f32_u32 s25, s23
	s_sub_nc_u64 s[30:31], 0, s[22:23]
	s_delay_alu instid0(SALU_CYCLE_2) | instskip(NEXT) | instid1(SALU_CYCLE_3)
	s_fmamk_f32 s24, s25, 0x4f800000, s24
	v_s_rcp_f32 s24, s24
	s_delay_alu instid0(TRANS32_DEP_1) | instskip(NEXT) | instid1(SALU_CYCLE_3)
	s_mul_f32 s24, s24, 0x5f7ffffc
	s_mul_f32 s25, s24, 0x2f800000
	s_delay_alu instid0(SALU_CYCLE_3) | instskip(NEXT) | instid1(SALU_CYCLE_3)
	s_trunc_f32 s25, s25
	s_fmamk_f32 s24, s25, 0xcf800000, s24
	s_cvt_u32_f32 s29, s25
	s_mov_b32 s25, 0
	s_delay_alu instid0(SALU_CYCLE_1) | instskip(NEXT) | instid1(SALU_CYCLE_3)
	s_cvt_u32_f32 s28, s24
	s_mul_u64 s[34:35], s[30:31], s[28:29]
	s_delay_alu instid0(SALU_CYCLE_1)
	s_mul_hi_u32 s37, s28, s35
	s_mul_i32 s36, s28, s35
	s_mul_hi_u32 s24, s28, s34
	s_mul_i32 s38, s29, s34
	s_add_nc_u64 s[36:37], s[24:25], s[36:37]
	s_mul_hi_u32 s33, s29, s34
	s_mul_hi_u32 s39, s29, s35
	s_add_co_u32 s24, s36, s38
	s_add_co_ci_u32 s24, s37, s33
	s_mul_i32 s34, s29, s35
	s_add_co_ci_u32 s35, s39, 0
	s_delay_alu instid0(SALU_CYCLE_1) | instskip(NEXT) | instid1(SALU_CYCLE_1)
	s_add_nc_u64 s[34:35], s[24:25], s[34:35]
	s_add_co_u32 s28, s28, s34
	s_cselect_b32 s24, -1, 0
	s_delay_alu instid0(SALU_CYCLE_1) | instskip(SKIP_1) | instid1(SALU_CYCLE_1)
	s_cmp_lg_u32 s24, 0
	s_add_co_ci_u32 s29, s29, s35
	s_mul_u64 s[30:31], s[30:31], s[28:29]
	s_delay_alu instid0(SALU_CYCLE_1)
	s_mul_hi_u32 s35, s28, s31
	s_mul_i32 s34, s28, s31
	s_mul_hi_u32 s24, s28, s30
	s_mul_i32 s36, s29, s30
	s_add_nc_u64 s[34:35], s[24:25], s[34:35]
	s_mul_hi_u32 s33, s29, s30
	s_mul_hi_u32 s37, s29, s31
	s_add_co_u32 s24, s34, s36
	s_add_co_ci_u32 s24, s35, s33
	s_mul_i32 s30, s29, s31
	s_add_co_ci_u32 s31, s37, 0
	s_delay_alu instid0(SALU_CYCLE_1) | instskip(NEXT) | instid1(SALU_CYCLE_1)
	s_add_nc_u64 s[30:31], s[24:25], s[30:31]
	s_add_co_u32 s33, s28, s30
	s_cselect_b32 s24, -1, 0
	s_delay_alu instid0(SALU_CYCLE_1) | instskip(SKIP_2) | instid1(SALU_CYCLE_1)
	s_cmp_lg_u32 s24, 0
	s_add_co_ci_u32 s36, s29, s31
	s_ashr_i32 s28, s3, 31
	s_mov_b32 s29, s28
	s_delay_alu instid0(SALU_CYCLE_1) | instskip(NEXT) | instid1(SALU_CYCLE_1)
	s_add_nc_u64 s[30:31], s[2:3], s[28:29]
	s_xor_b64 s[30:31], s[30:31], s[28:29]
	s_delay_alu instid0(SALU_CYCLE_1)
	s_mul_hi_u32 s35, s30, s36
	s_mul_i32 s34, s30, s36
	s_mul_hi_u32 s24, s30, s33
	s_mul_hi_u32 s38, s31, s33
	s_mul_i32 s33, s31, s33
	s_add_nc_u64 s[34:35], s[24:25], s[34:35]
	s_mul_hi_u32 s37, s31, s36
	s_add_co_u32 s24, s34, s33
	s_add_co_ci_u32 s24, s35, s38
	s_mul_i32 s36, s31, s36
	s_add_co_ci_u32 s37, s37, 0
	s_delay_alu instid0(SALU_CYCLE_1) | instskip(NEXT) | instid1(SALU_CYCLE_1)
	s_add_nc_u64 s[34:35], s[24:25], s[36:37]
	s_and_b64 s[36:37], s[34:35], 0xffffffff00000000
	s_delay_alu instid0(SALU_CYCLE_1) | instskip(NEXT) | instid1(SALU_CYCLE_1)
	s_or_b32 s36, s36, s34
	s_mul_u64 s[34:35], s[22:23], s[36:37]
	s_delay_alu instid0(SALU_CYCLE_1)
	s_sub_co_u32 s24, s30, s34
	s_cselect_b32 s30, -1, 0
	s_sub_co_i32 s33, s31, s35
	s_cmp_lg_u32 s30, 0
	s_sub_co_ci_u32 s33, s33, s23
	s_sub_co_u32 s34, s24, s22
	s_cselect_b32 s38, -1, 0
	s_delay_alu instid0(SALU_CYCLE_1) | instskip(SKIP_2) | instid1(SALU_CYCLE_1)
	s_cmp_lg_u32 s38, 0
	s_add_nc_u64 s[38:39], s[36:37], 1
	s_sub_co_ci_u32 s33, s33, 0
	s_cmp_ge_u32 s33, s23
	s_cselect_b32 s40, -1, 0
	s_cmp_ge_u32 s34, s22
	s_cselect_b32 s34, -1, 0
	s_cmp_eq_u32 s33, s23
	s_cselect_b32 s33, s34, s40
	s_add_nc_u64 s[40:41], s[36:37], 2
	s_cmp_lg_u32 s33, 0
	s_cselect_b32 s33, s40, s38
	s_cselect_b32 s34, s41, s39
	s_cmp_lg_u32 s30, 0
	s_sub_co_ci_u32 s30, s31, s35
	s_delay_alu instid0(SALU_CYCLE_1)
	s_cmp_ge_u32 s30, s23
	s_cselect_b32 s31, -1, 0
	s_cmp_ge_u32 s24, s22
	s_cselect_b32 s22, -1, 0
	s_cmp_eq_u32 s30, s23
	s_cselect_b32 s22, s22, s31
	s_delay_alu instid0(SALU_CYCLE_1) | instskip(SKIP_3) | instid1(SALU_CYCLE_1)
	s_cmp_lg_u32 s22, 0
	s_cselect_b32 s23, s34, s37
	s_cselect_b32 s22, s33, s36
	s_xor_b64 s[20:21], s[28:29], s[20:21]
	s_xor_b64 s[22:23], s[22:23], s[20:21]
	s_delay_alu instid0(SALU_CYCLE_1)
	s_sub_nc_u64 s[20:21], s[22:23], s[20:21]
	s_cbranch_execnz .LBB0_22
.LBB0_21:
	v_cvt_f32_u32_e32 v1, s12
	s_sub_co_i32 s21, 0, s12
	s_delay_alu instid0(VALU_DEP_1) | instskip(SKIP_1) | instid1(TRANS32_DEP_1)
	v_rcp_iflag_f32_e32 v1, v1
	v_nop
	v_mul_f32_e32 v1, 0x4f7ffffe, v1
	s_delay_alu instid0(VALU_DEP_1) | instskip(NEXT) | instid1(VALU_DEP_1)
	v_cvt_u32_f32_e32 v1, v1
	v_readfirstlane_b32 s20, v1
	s_mul_i32 s21, s21, s20
	s_delay_alu instid0(SALU_CYCLE_1) | instskip(NEXT) | instid1(SALU_CYCLE_1)
	s_mul_hi_u32 s21, s20, s21
	s_add_co_i32 s20, s20, s21
	s_delay_alu instid0(SALU_CYCLE_1) | instskip(NEXT) | instid1(SALU_CYCLE_1)
	s_mul_hi_u32 s20, s2, s20
	s_mul_i32 s21, s20, s12
	s_add_co_i32 s22, s20, 1
	s_sub_co_i32 s21, s2, s21
	s_delay_alu instid0(SALU_CYCLE_1)
	s_sub_co_i32 s23, s21, s12
	s_cmp_ge_u32 s21, s12
	s_cselect_b32 s20, s22, s20
	s_cselect_b32 s21, s23, s21
	s_add_co_i32 s22, s20, 1
	s_cmp_ge_u32 s21, s12
	s_mov_b32 s21, 0
	s_cselect_b32 s20, s22, s20
.LBB0_22:
	s_delay_alu instid0(SALU_CYCLE_1) | instskip(SKIP_1) | instid1(SALU_CYCLE_1)
	v_min_i64 v[2:3], s[20:21], s[0:1]
	s_mul_u64 s[20:21], s[14:15], s[12:13]
	s_add_nc_u64 s[22:23], s[20:21], s[10:11]
	v_cmp_gt_i64_e64 s20, s[20:21], s[2:3]
	v_cmp_ge_i64_e64 s21, s[2:3], s[22:23]
	s_or_b32 s20, s20, s21
	s_mov_b32 s21, 0
	v_cndmask_b32_e64 v1, 0, 1, s20
	s_delay_alu instid0(VALU_DEP_1) | instskip(SKIP_1) | instid1(SALU_CYCLE_1)
	v_readfirstlane_b32 s20, v1
	s_add_nc_u64 s[14:15], s[14:15], s[20:21]
	v_cmp_gt_i64_e32 vcc_lo, s[14:15], v[2:3]
	s_cbranch_vccnz .LBB0_25
; %bb.23:
	global_load_b32 v8, v0, s[4:5] scale_offset
	v_ashrrev_i32_e32 v1, 31, v0
	s_mul_u64 s[20:21], s[12:13], s[14:15]
	s_delay_alu instid0(SALU_CYCLE_1)
	s_sub_nc_u64 s[2:3], s[2:3], s[20:21]
	s_mul_u64 s[20:21], s[16:17], s[14:15]
	s_mul_u64 s[2:3], s[18:19], s[2:3]
	v_lshlrev_b64_e32 v[6:7], 2, v[0:1]
	s_lshl_b64 s[2:3], s[2:3], 2
	s_lshl_b64 s[20:21], s[20:21], 2
	s_delay_alu instid0(SALU_CYCLE_1) | instskip(SKIP_2) | instid1(VALU_DEP_1)
	s_add_nc_u64 s[2:3], s[2:3], s[20:21]
	s_lshl_b64 s[20:21], s[16:17], 2
	s_add_nc_u64 s[2:3], s[6:7], s[2:3]
	v_add_nc_u64_e32 v[4:5], s[4:5], v[6:7]
	v_add_nc_u64_e32 v[6:7], s[2:3], v[6:7]
	s_mul_u64 s[2:3], s[12:13], s[18:19]
	s_delay_alu instid0(SALU_CYCLE_1)
	s_lshl_b64 s[22:23], s[2:3], 2
	s_add_nc_u64 s[2:3], s[14:15], -1
	s_sub_nc_u64 s[14:15], s[20:21], s[22:23]
.LBB0_24:                               ; =>This Inner Loop Header: Depth=1
	global_load_b32 v1, v[6:7], off
	s_add_nc_u64 s[2:3], s[2:3], 1
	s_wait_xcnt 0x0
	v_add_nc_u64_e32 v[6:7], s[14:15], v[6:7]
	v_cmp_lt_i64_e32 vcc_lo, s[2:3], v[2:3]
	s_wait_loadcnt 0x0
	v_add_nc_u32_e32 v8, v1, v8
	global_store_b32 v[4:5], v8, off
	s_cbranch_vccnz .LBB0_24
.LBB0_25:
	v_add_nc_u32_e32 v0, 64, v0
	s_wait_xcnt 0x0
	s_or_b32 exec_lo, exec_lo, s27
	s_delay_alu instid0(SALU_CYCLE_1) | instskip(NEXT) | instid1(VALU_DEP_1)
	s_mov_b32 s27, exec_lo
	v_cmpx_gt_i32_e64 s26, v0
	s_cbranch_execz .LBB0_3
.LBB0_26:
	s_load_b64 s[2:3], s[8:9], 0x0
	s_wait_kmcnt 0x0
	v_cmp_le_i64_e64 s14, s[2:3], s[10:11]
	s_and_b32 vcc_lo, exec_lo, s14
	s_mov_b64 s[14:15], 0
	s_cbranch_vccnz .LBB0_30
; %bb.27:
	s_sub_nc_u64 s[20:21], s[2:3], s[10:11]
	s_delay_alu instid0(SALU_CYCLE_1) | instskip(NEXT) | instid1(SALU_CYCLE_1)
	s_or_b64 s[14:15], s[20:21], s[12:13]
	s_and_b64 s[14:15], s[14:15], 0xffffffff00000000
	s_delay_alu instid0(SALU_CYCLE_1)
	s_cmp_lg_u64 s[14:15], 0
	s_cbranch_scc0 .LBB0_54
; %bb.28:
	s_ashr_i32 s14, s13, 31
	s_delay_alu instid0(SALU_CYCLE_1) | instskip(NEXT) | instid1(SALU_CYCLE_1)
	s_mov_b32 s15, s14
	s_add_nc_u64 s[22:23], s[12:13], s[14:15]
	s_delay_alu instid0(SALU_CYCLE_1) | instskip(NEXT) | instid1(SALU_CYCLE_1)
	s_xor_b64 s[22:23], s[22:23], s[14:15]
	s_cvt_f32_u32 s24, s22
	s_cvt_f32_u32 s25, s23
	s_sub_nc_u64 s[30:31], 0, s[22:23]
	s_delay_alu instid0(SALU_CYCLE_2) | instskip(NEXT) | instid1(SALU_CYCLE_3)
	s_fmamk_f32 s24, s25, 0x4f800000, s24
	v_s_rcp_f32 s24, s24
	s_delay_alu instid0(TRANS32_DEP_1) | instskip(NEXT) | instid1(SALU_CYCLE_3)
	s_mul_f32 s24, s24, 0x5f7ffffc
	s_mul_f32 s25, s24, 0x2f800000
	s_delay_alu instid0(SALU_CYCLE_3) | instskip(NEXT) | instid1(SALU_CYCLE_3)
	s_trunc_f32 s25, s25
	s_fmamk_f32 s24, s25, 0xcf800000, s24
	s_cvt_u32_f32 s29, s25
	s_mov_b32 s25, 0
	s_delay_alu instid0(SALU_CYCLE_1) | instskip(NEXT) | instid1(SALU_CYCLE_3)
	s_cvt_u32_f32 s28, s24
	s_mul_u64 s[34:35], s[30:31], s[28:29]
	s_delay_alu instid0(SALU_CYCLE_1)
	s_mul_hi_u32 s37, s28, s35
	s_mul_i32 s36, s28, s35
	s_mul_hi_u32 s24, s28, s34
	s_mul_i32 s38, s29, s34
	s_add_nc_u64 s[36:37], s[24:25], s[36:37]
	s_mul_hi_u32 s33, s29, s34
	s_mul_hi_u32 s39, s29, s35
	s_add_co_u32 s24, s36, s38
	s_add_co_ci_u32 s24, s37, s33
	s_mul_i32 s34, s29, s35
	s_add_co_ci_u32 s35, s39, 0
	s_delay_alu instid0(SALU_CYCLE_1) | instskip(NEXT) | instid1(SALU_CYCLE_1)
	s_add_nc_u64 s[34:35], s[24:25], s[34:35]
	s_add_co_u32 s28, s28, s34
	s_cselect_b32 s24, -1, 0
	s_delay_alu instid0(SALU_CYCLE_1) | instskip(SKIP_1) | instid1(SALU_CYCLE_1)
	s_cmp_lg_u32 s24, 0
	s_add_co_ci_u32 s29, s29, s35
	s_mul_u64 s[30:31], s[30:31], s[28:29]
	s_delay_alu instid0(SALU_CYCLE_1)
	s_mul_hi_u32 s35, s28, s31
	s_mul_i32 s34, s28, s31
	s_mul_hi_u32 s24, s28, s30
	s_mul_i32 s36, s29, s30
	s_add_nc_u64 s[34:35], s[24:25], s[34:35]
	s_mul_hi_u32 s33, s29, s30
	s_mul_hi_u32 s37, s29, s31
	s_add_co_u32 s24, s34, s36
	s_add_co_ci_u32 s24, s35, s33
	s_mul_i32 s30, s29, s31
	s_add_co_ci_u32 s31, s37, 0
	s_delay_alu instid0(SALU_CYCLE_1) | instskip(NEXT) | instid1(SALU_CYCLE_1)
	s_add_nc_u64 s[30:31], s[24:25], s[30:31]
	s_add_co_u32 s33, s28, s30
	s_cselect_b32 s24, -1, 0
	s_delay_alu instid0(SALU_CYCLE_1) | instskip(SKIP_2) | instid1(SALU_CYCLE_1)
	s_cmp_lg_u32 s24, 0
	s_add_co_ci_u32 s36, s29, s31
	s_ashr_i32 s28, s21, 31
	s_mov_b32 s29, s28
	s_delay_alu instid0(SALU_CYCLE_1) | instskip(NEXT) | instid1(SALU_CYCLE_1)
	s_add_nc_u64 s[30:31], s[20:21], s[28:29]
	s_xor_b64 s[30:31], s[30:31], s[28:29]
	s_delay_alu instid0(SALU_CYCLE_1)
	s_mul_hi_u32 s35, s30, s36
	s_mul_i32 s34, s30, s36
	s_mul_hi_u32 s24, s30, s33
	s_mul_hi_u32 s37, s31, s33
	s_mul_i32 s33, s31, s33
	s_add_nc_u64 s[34:35], s[24:25], s[34:35]
	s_mul_hi_u32 s21, s31, s36
	s_add_co_u32 s24, s34, s33
	s_add_co_ci_u32 s24, s35, s37
	s_mul_i32 s36, s31, s36
	s_add_co_ci_u32 s37, s21, 0
	s_delay_alu instid0(SALU_CYCLE_1) | instskip(NEXT) | instid1(SALU_CYCLE_1)
	s_add_nc_u64 s[34:35], s[24:25], s[36:37]
	s_and_b64 s[36:37], s[34:35], 0xffffffff00000000
	s_delay_alu instid0(SALU_CYCLE_1) | instskip(NEXT) | instid1(SALU_CYCLE_1)
	s_or_b32 s36, s36, s34
	s_mul_u64 s[34:35], s[22:23], s[36:37]
	s_add_nc_u64 s[38:39], s[36:37], 1
	s_sub_co_u32 s21, s30, s34
	s_cselect_b32 s24, -1, 0
	s_sub_co_i32 s30, s31, s35
	s_cmp_lg_u32 s24, 0
	s_add_nc_u64 s[40:41], s[36:37], 2
	s_sub_co_ci_u32 s30, s30, s23
	s_sub_co_u32 s33, s21, s22
	s_cselect_b32 s34, -1, 0
	s_delay_alu instid0(SALU_CYCLE_1) | instskip(SKIP_1) | instid1(SALU_CYCLE_1)
	s_cmp_lg_u32 s34, 0
	s_sub_co_ci_u32 s30, s30, 0
	s_cmp_ge_u32 s30, s23
	s_cselect_b32 s34, -1, 0
	s_cmp_ge_u32 s33, s22
	s_cselect_b32 s33, -1, 0
	s_cmp_eq_u32 s30, s23
	s_cselect_b32 s30, s33, s34
	s_delay_alu instid0(SALU_CYCLE_1) | instskip(SKIP_4) | instid1(SALU_CYCLE_1)
	s_cmp_lg_u32 s30, 0
	s_cselect_b32 s30, s40, s38
	s_cselect_b32 s33, s41, s39
	s_cmp_lg_u32 s24, 0
	s_sub_co_ci_u32 s24, s31, s35
	s_cmp_ge_u32 s24, s23
	s_cselect_b32 s31, -1, 0
	s_cmp_ge_u32 s21, s22
	s_cselect_b32 s21, -1, 0
	s_cmp_eq_u32 s24, s23
	s_cselect_b32 s21, s21, s31
	s_delay_alu instid0(SALU_CYCLE_1) | instskip(SKIP_3) | instid1(SALU_CYCLE_1)
	s_cmp_lg_u32 s21, 0
	s_cselect_b32 s23, s33, s37
	s_cselect_b32 s22, s30, s36
	s_xor_b64 s[14:15], s[28:29], s[14:15]
	s_xor_b64 s[22:23], s[22:23], s[14:15]
	s_delay_alu instid0(SALU_CYCLE_1)
	s_sub_nc_u64 s[14:15], s[22:23], s[14:15]
	s_cbranch_execnz .LBB0_30
.LBB0_29:
	v_cvt_f32_u32_e32 v1, s12
	s_sub_co_i32 s15, 0, s12
	s_delay_alu instid0(VALU_DEP_1) | instskip(SKIP_1) | instid1(TRANS32_DEP_1)
	v_rcp_iflag_f32_e32 v1, v1
	v_nop
	v_mul_f32_e32 v1, 0x4f7ffffe, v1
	s_delay_alu instid0(VALU_DEP_1) | instskip(NEXT) | instid1(VALU_DEP_1)
	v_cvt_u32_f32_e32 v1, v1
	v_readfirstlane_b32 s14, v1
	s_mul_i32 s15, s15, s14
	s_delay_alu instid0(SALU_CYCLE_1) | instskip(NEXT) | instid1(SALU_CYCLE_1)
	s_mul_hi_u32 s15, s14, s15
	s_add_co_i32 s14, s14, s15
	s_delay_alu instid0(SALU_CYCLE_1) | instskip(NEXT) | instid1(SALU_CYCLE_1)
	s_mul_hi_u32 s14, s20, s14
	s_mul_i32 s15, s14, s12
	s_delay_alu instid0(SALU_CYCLE_1)
	s_sub_co_i32 s15, s20, s15
	s_add_co_i32 s20, s14, 1
	s_sub_co_i32 s21, s15, s12
	s_cmp_ge_u32 s15, s12
	s_cselect_b32 s14, s20, s14
	s_cselect_b32 s15, s21, s15
	s_add_co_i32 s20, s14, 1
	s_cmp_ge_u32 s15, s12
	s_mov_b32 s15, 0
	s_cselect_b32 s14, s20, s14
.LBB0_30:
	s_or_b64 s[20:21], s[2:3], s[12:13]
	s_delay_alu instid0(SALU_CYCLE_1) | instskip(NEXT) | instid1(SALU_CYCLE_1)
	s_and_b64 s[20:21], s[20:21], 0xffffffff00000000
	s_cmp_lg_u64 s[20:21], 0
	s_cbranch_scc0 .LBB0_50
; %bb.31:
	s_ashr_i32 s20, s13, 31
	s_delay_alu instid0(SALU_CYCLE_1) | instskip(NEXT) | instid1(SALU_CYCLE_1)
	s_mov_b32 s21, s20
	s_add_nc_u64 s[22:23], s[12:13], s[20:21]
	s_delay_alu instid0(SALU_CYCLE_1) | instskip(NEXT) | instid1(SALU_CYCLE_1)
	s_xor_b64 s[22:23], s[22:23], s[20:21]
	s_cvt_f32_u32 s24, s22
	s_cvt_f32_u32 s25, s23
	s_sub_nc_u64 s[30:31], 0, s[22:23]
	s_delay_alu instid0(SALU_CYCLE_2) | instskip(NEXT) | instid1(SALU_CYCLE_3)
	s_fmamk_f32 s24, s25, 0x4f800000, s24
	v_s_rcp_f32 s24, s24
	s_delay_alu instid0(TRANS32_DEP_1) | instskip(NEXT) | instid1(SALU_CYCLE_3)
	s_mul_f32 s24, s24, 0x5f7ffffc
	s_mul_f32 s25, s24, 0x2f800000
	s_delay_alu instid0(SALU_CYCLE_3) | instskip(NEXT) | instid1(SALU_CYCLE_3)
	s_trunc_f32 s25, s25
	s_fmamk_f32 s24, s25, 0xcf800000, s24
	s_cvt_u32_f32 s29, s25
	s_mov_b32 s25, 0
	s_delay_alu instid0(SALU_CYCLE_1) | instskip(NEXT) | instid1(SALU_CYCLE_3)
	s_cvt_u32_f32 s28, s24
	s_mul_u64 s[34:35], s[30:31], s[28:29]
	s_delay_alu instid0(SALU_CYCLE_1)
	s_mul_hi_u32 s37, s28, s35
	s_mul_i32 s36, s28, s35
	s_mul_hi_u32 s24, s28, s34
	s_mul_i32 s38, s29, s34
	s_add_nc_u64 s[36:37], s[24:25], s[36:37]
	s_mul_hi_u32 s33, s29, s34
	s_mul_hi_u32 s39, s29, s35
	s_add_co_u32 s24, s36, s38
	s_add_co_ci_u32 s24, s37, s33
	s_mul_i32 s34, s29, s35
	s_add_co_ci_u32 s35, s39, 0
	s_delay_alu instid0(SALU_CYCLE_1) | instskip(NEXT) | instid1(SALU_CYCLE_1)
	s_add_nc_u64 s[34:35], s[24:25], s[34:35]
	s_add_co_u32 s28, s28, s34
	s_cselect_b32 s24, -1, 0
	s_delay_alu instid0(SALU_CYCLE_1) | instskip(SKIP_1) | instid1(SALU_CYCLE_1)
	s_cmp_lg_u32 s24, 0
	s_add_co_ci_u32 s29, s29, s35
	s_mul_u64 s[30:31], s[30:31], s[28:29]
	s_delay_alu instid0(SALU_CYCLE_1)
	s_mul_hi_u32 s35, s28, s31
	s_mul_i32 s34, s28, s31
	s_mul_hi_u32 s24, s28, s30
	s_mul_i32 s36, s29, s30
	s_add_nc_u64 s[34:35], s[24:25], s[34:35]
	s_mul_hi_u32 s33, s29, s30
	s_mul_hi_u32 s37, s29, s31
	s_add_co_u32 s24, s34, s36
	s_add_co_ci_u32 s24, s35, s33
	s_mul_i32 s30, s29, s31
	s_add_co_ci_u32 s31, s37, 0
	s_delay_alu instid0(SALU_CYCLE_1) | instskip(NEXT) | instid1(SALU_CYCLE_1)
	s_add_nc_u64 s[30:31], s[24:25], s[30:31]
	s_add_co_u32 s33, s28, s30
	s_cselect_b32 s24, -1, 0
	s_delay_alu instid0(SALU_CYCLE_1) | instskip(SKIP_2) | instid1(SALU_CYCLE_1)
	s_cmp_lg_u32 s24, 0
	s_add_co_ci_u32 s36, s29, s31
	s_ashr_i32 s28, s3, 31
	s_mov_b32 s29, s28
	s_delay_alu instid0(SALU_CYCLE_1) | instskip(NEXT) | instid1(SALU_CYCLE_1)
	s_add_nc_u64 s[30:31], s[2:3], s[28:29]
	s_xor_b64 s[30:31], s[30:31], s[28:29]
	s_delay_alu instid0(SALU_CYCLE_1)
	s_mul_hi_u32 s35, s30, s36
	s_mul_i32 s34, s30, s36
	s_mul_hi_u32 s24, s30, s33
	s_mul_hi_u32 s38, s31, s33
	s_mul_i32 s33, s31, s33
	s_add_nc_u64 s[34:35], s[24:25], s[34:35]
	s_mul_hi_u32 s37, s31, s36
	s_add_co_u32 s24, s34, s33
	s_add_co_ci_u32 s24, s35, s38
	s_mul_i32 s36, s31, s36
	s_add_co_ci_u32 s37, s37, 0
	s_delay_alu instid0(SALU_CYCLE_1) | instskip(NEXT) | instid1(SALU_CYCLE_1)
	s_add_nc_u64 s[34:35], s[24:25], s[36:37]
	s_and_b64 s[36:37], s[34:35], 0xffffffff00000000
	s_delay_alu instid0(SALU_CYCLE_1) | instskip(NEXT) | instid1(SALU_CYCLE_1)
	s_or_b32 s36, s36, s34
	s_mul_u64 s[34:35], s[22:23], s[36:37]
	s_delay_alu instid0(SALU_CYCLE_1)
	s_sub_co_u32 s24, s30, s34
	s_cselect_b32 s30, -1, 0
	s_sub_co_i32 s33, s31, s35
	s_cmp_lg_u32 s30, 0
	s_sub_co_ci_u32 s33, s33, s23
	s_sub_co_u32 s34, s24, s22
	s_cselect_b32 s38, -1, 0
	s_delay_alu instid0(SALU_CYCLE_1) | instskip(SKIP_2) | instid1(SALU_CYCLE_1)
	s_cmp_lg_u32 s38, 0
	s_add_nc_u64 s[38:39], s[36:37], 1
	s_sub_co_ci_u32 s33, s33, 0
	s_cmp_ge_u32 s33, s23
	s_cselect_b32 s40, -1, 0
	s_cmp_ge_u32 s34, s22
	s_cselect_b32 s34, -1, 0
	s_cmp_eq_u32 s33, s23
	s_cselect_b32 s33, s34, s40
	s_add_nc_u64 s[40:41], s[36:37], 2
	s_cmp_lg_u32 s33, 0
	s_cselect_b32 s33, s40, s38
	s_cselect_b32 s34, s41, s39
	s_cmp_lg_u32 s30, 0
	s_sub_co_ci_u32 s30, s31, s35
	s_delay_alu instid0(SALU_CYCLE_1)
	s_cmp_ge_u32 s30, s23
	s_cselect_b32 s31, -1, 0
	s_cmp_ge_u32 s24, s22
	s_cselect_b32 s22, -1, 0
	s_cmp_eq_u32 s30, s23
	s_cselect_b32 s22, s22, s31
	s_delay_alu instid0(SALU_CYCLE_1) | instskip(SKIP_3) | instid1(SALU_CYCLE_1)
	s_cmp_lg_u32 s22, 0
	s_cselect_b32 s23, s34, s37
	s_cselect_b32 s22, s33, s36
	s_xor_b64 s[20:21], s[28:29], s[20:21]
	s_xor_b64 s[22:23], s[22:23], s[20:21]
	s_delay_alu instid0(SALU_CYCLE_1)
	s_sub_nc_u64 s[20:21], s[22:23], s[20:21]
	s_cbranch_execnz .LBB0_33
.LBB0_32:
	v_cvt_f32_u32_e32 v1, s12
	s_sub_co_i32 s21, 0, s12
	s_delay_alu instid0(VALU_DEP_1) | instskip(SKIP_1) | instid1(TRANS32_DEP_1)
	v_rcp_iflag_f32_e32 v1, v1
	v_nop
	v_mul_f32_e32 v1, 0x4f7ffffe, v1
	s_delay_alu instid0(VALU_DEP_1) | instskip(NEXT) | instid1(VALU_DEP_1)
	v_cvt_u32_f32_e32 v1, v1
	v_readfirstlane_b32 s20, v1
	s_mul_i32 s21, s21, s20
	s_delay_alu instid0(SALU_CYCLE_1) | instskip(NEXT) | instid1(SALU_CYCLE_1)
	s_mul_hi_u32 s21, s20, s21
	s_add_co_i32 s20, s20, s21
	s_delay_alu instid0(SALU_CYCLE_1) | instskip(NEXT) | instid1(SALU_CYCLE_1)
	s_mul_hi_u32 s20, s2, s20
	s_mul_i32 s21, s20, s12
	s_add_co_i32 s22, s20, 1
	s_sub_co_i32 s21, s2, s21
	s_delay_alu instid0(SALU_CYCLE_1)
	s_sub_co_i32 s23, s21, s12
	s_cmp_ge_u32 s21, s12
	s_cselect_b32 s20, s22, s20
	s_cselect_b32 s21, s23, s21
	s_add_co_i32 s22, s20, 1
	s_cmp_ge_u32 s21, s12
	s_mov_b32 s21, 0
	s_cselect_b32 s20, s22, s20
.LBB0_33:
	s_delay_alu instid0(SALU_CYCLE_1) | instskip(SKIP_1) | instid1(SALU_CYCLE_1)
	v_min_i64 v[2:3], s[20:21], s[0:1]
	s_mul_u64 s[20:21], s[14:15], s[12:13]
	s_add_nc_u64 s[22:23], s[20:21], s[10:11]
	v_cmp_gt_i64_e64 s20, s[20:21], s[2:3]
	v_cmp_ge_i64_e64 s21, s[2:3], s[22:23]
	s_or_b32 s20, s20, s21
	s_mov_b32 s21, 0
	v_cndmask_b32_e64 v1, 0, 1, s20
	s_delay_alu instid0(VALU_DEP_1) | instskip(SKIP_1) | instid1(SALU_CYCLE_1)
	v_readfirstlane_b32 s20, v1
	s_add_nc_u64 s[14:15], s[14:15], s[20:21]
	v_cmp_gt_i64_e32 vcc_lo, s[14:15], v[2:3]
	s_cbranch_vccnz .LBB0_36
; %bb.34:
	global_load_b32 v8, v0, s[4:5] scale_offset
	v_ashrrev_i32_e32 v1, 31, v0
	s_mul_u64 s[20:21], s[12:13], s[14:15]
	s_delay_alu instid0(SALU_CYCLE_1)
	s_sub_nc_u64 s[2:3], s[2:3], s[20:21]
	s_mul_u64 s[20:21], s[16:17], s[14:15]
	s_mul_u64 s[2:3], s[18:19], s[2:3]
	v_lshlrev_b64_e32 v[6:7], 2, v[0:1]
	s_lshl_b64 s[2:3], s[2:3], 2
	s_lshl_b64 s[20:21], s[20:21], 2
	s_delay_alu instid0(SALU_CYCLE_1) | instskip(SKIP_2) | instid1(VALU_DEP_1)
	s_add_nc_u64 s[2:3], s[2:3], s[20:21]
	s_lshl_b64 s[20:21], s[16:17], 2
	s_add_nc_u64 s[2:3], s[6:7], s[2:3]
	v_add_nc_u64_e32 v[4:5], s[4:5], v[6:7]
	v_add_nc_u64_e32 v[6:7], s[2:3], v[6:7]
	s_mul_u64 s[2:3], s[12:13], s[18:19]
	s_delay_alu instid0(SALU_CYCLE_1)
	s_lshl_b64 s[22:23], s[2:3], 2
	s_add_nc_u64 s[2:3], s[14:15], -1
	s_sub_nc_u64 s[14:15], s[20:21], s[22:23]
.LBB0_35:                               ; =>This Inner Loop Header: Depth=1
	global_load_b32 v1, v[6:7], off
	s_add_nc_u64 s[2:3], s[2:3], 1
	s_wait_xcnt 0x0
	v_add_nc_u64_e32 v[6:7], s[14:15], v[6:7]
	v_cmp_lt_i64_e32 vcc_lo, s[2:3], v[2:3]
	s_wait_loadcnt 0x0
	v_add_nc_u32_e32 v8, v1, v8
	global_store_b32 v[4:5], v8, off
	s_cbranch_vccnz .LBB0_35
.LBB0_36:
	v_add_nc_u32_e32 v0, 64, v0
	s_wait_xcnt 0x0
	s_or_b32 exec_lo, exec_lo, s27
	s_delay_alu instid0(SALU_CYCLE_1) | instskip(NEXT) | instid1(VALU_DEP_1)
	s_mov_b32 s2, exec_lo
	v_cmpx_gt_i32_e64 s26, v0
	s_cbranch_execz .LBB0_47
.LBB0_37:
	s_load_b64 s[2:3], s[8:9], 0x0
	s_wait_kmcnt 0x0
	v_cmp_le_i64_e64 s8, s[2:3], s[10:11]
	s_and_b32 vcc_lo, exec_lo, s8
	s_mov_b64 s[8:9], 0
	s_cbranch_vccnz .LBB0_41
; %bb.38:
	s_sub_nc_u64 s[14:15], s[2:3], s[10:11]
	s_delay_alu instid0(SALU_CYCLE_1) | instskip(NEXT) | instid1(SALU_CYCLE_1)
	s_or_b64 s[8:9], s[14:15], s[12:13]
	s_and_b64 s[8:9], s[8:9], 0xffffffff00000000
	s_delay_alu instid0(SALU_CYCLE_1)
	s_cmp_lg_u64 s[8:9], 0
	s_cbranch_scc0 .LBB0_55
; %bb.39:
	s_ashr_i32 s8, s13, 31
	s_delay_alu instid0(SALU_CYCLE_1) | instskip(NEXT) | instid1(SALU_CYCLE_1)
	s_mov_b32 s9, s8
	s_add_nc_u64 s[20:21], s[12:13], s[8:9]
	s_delay_alu instid0(SALU_CYCLE_1) | instskip(NEXT) | instid1(SALU_CYCLE_1)
	s_xor_b64 s[20:21], s[20:21], s[8:9]
	s_cvt_f32_u32 s22, s20
	s_cvt_f32_u32 s23, s21
	s_sub_nc_u64 s[26:27], 0, s[20:21]
	s_delay_alu instid0(SALU_CYCLE_2) | instskip(NEXT) | instid1(SALU_CYCLE_3)
	s_fmamk_f32 s22, s23, 0x4f800000, s22
	v_s_rcp_f32 s22, s22
	s_delay_alu instid0(TRANS32_DEP_1) | instskip(NEXT) | instid1(SALU_CYCLE_3)
	s_mul_f32 s22, s22, 0x5f7ffffc
	s_mul_f32 s23, s22, 0x2f800000
	s_delay_alu instid0(SALU_CYCLE_3) | instskip(NEXT) | instid1(SALU_CYCLE_3)
	s_trunc_f32 s23, s23
	s_fmamk_f32 s22, s23, 0xcf800000, s22
	s_cvt_u32_f32 s25, s23
	s_mov_b32 s23, 0
	s_delay_alu instid0(SALU_CYCLE_1) | instskip(NEXT) | instid1(SALU_CYCLE_3)
	s_cvt_u32_f32 s24, s22
	s_mul_u64 s[28:29], s[26:27], s[24:25]
	s_delay_alu instid0(SALU_CYCLE_1)
	s_mul_hi_u32 s31, s24, s29
	s_mul_i32 s30, s24, s29
	s_mul_hi_u32 s22, s24, s28
	s_mul_i32 s34, s25, s28
	s_add_nc_u64 s[30:31], s[22:23], s[30:31]
	s_mul_hi_u32 s33, s25, s28
	s_mul_hi_u32 s35, s25, s29
	s_add_co_u32 s22, s30, s34
	s_add_co_ci_u32 s22, s31, s33
	s_mul_i32 s28, s25, s29
	s_add_co_ci_u32 s29, s35, 0
	s_delay_alu instid0(SALU_CYCLE_1) | instskip(NEXT) | instid1(SALU_CYCLE_1)
	s_add_nc_u64 s[28:29], s[22:23], s[28:29]
	s_add_co_u32 s24, s24, s28
	s_cselect_b32 s22, -1, 0
	s_delay_alu instid0(SALU_CYCLE_1) | instskip(SKIP_1) | instid1(SALU_CYCLE_1)
	s_cmp_lg_u32 s22, 0
	s_add_co_ci_u32 s25, s25, s29
	s_mul_u64 s[26:27], s[26:27], s[24:25]
	s_delay_alu instid0(SALU_CYCLE_1)
	s_mul_hi_u32 s29, s24, s27
	s_mul_i32 s28, s24, s27
	s_mul_hi_u32 s22, s24, s26
	s_mul_i32 s31, s25, s26
	s_add_nc_u64 s[28:29], s[22:23], s[28:29]
	s_mul_hi_u32 s30, s25, s26
	s_mul_hi_u32 s33, s25, s27
	s_add_co_u32 s22, s28, s31
	s_add_co_ci_u32 s22, s29, s30
	s_mul_i32 s26, s25, s27
	s_add_co_ci_u32 s27, s33, 0
	s_delay_alu instid0(SALU_CYCLE_1) | instskip(NEXT) | instid1(SALU_CYCLE_1)
	s_add_nc_u64 s[26:27], s[22:23], s[26:27]
	s_add_co_u32 s30, s24, s26
	s_cselect_b32 s22, -1, 0
	s_delay_alu instid0(SALU_CYCLE_1) | instskip(SKIP_2) | instid1(SALU_CYCLE_1)
	s_cmp_lg_u32 s22, 0
	s_add_co_ci_u32 s31, s25, s27
	s_ashr_i32 s24, s15, 31
	s_mov_b32 s25, s24
	s_delay_alu instid0(SALU_CYCLE_1) | instskip(NEXT) | instid1(SALU_CYCLE_1)
	s_add_nc_u64 s[26:27], s[14:15], s[24:25]
	s_xor_b64 s[26:27], s[26:27], s[24:25]
	s_delay_alu instid0(SALU_CYCLE_1)
	s_mul_hi_u32 s29, s26, s31
	s_mul_i32 s28, s26, s31
	s_mul_hi_u32 s22, s26, s30
	s_mul_i32 s34, s27, s30
	s_add_nc_u64 s[28:29], s[22:23], s[28:29]
	s_mul_hi_u32 s33, s27, s30
	s_mul_hi_u32 s15, s27, s31
	s_add_co_u32 s22, s28, s34
	s_add_co_ci_u32 s22, s29, s33
	s_mul_i32 s30, s27, s31
	s_add_co_ci_u32 s31, s15, 0
	s_delay_alu instid0(SALU_CYCLE_1) | instskip(NEXT) | instid1(SALU_CYCLE_1)
	s_add_nc_u64 s[28:29], s[22:23], s[30:31]
	s_and_b64 s[30:31], s[28:29], 0xffffffff00000000
	s_delay_alu instid0(SALU_CYCLE_1) | instskip(NEXT) | instid1(SALU_CYCLE_1)
	s_or_b32 s30, s30, s28
	s_mul_u64 s[28:29], s[20:21], s[30:31]
	s_add_nc_u64 s[34:35], s[30:31], 1
	s_sub_co_u32 s15, s26, s28
	s_cselect_b32 s22, -1, 0
	s_sub_co_i32 s26, s27, s29
	s_cmp_lg_u32 s22, 0
	s_add_nc_u64 s[36:37], s[30:31], 2
	s_sub_co_ci_u32 s26, s26, s21
	s_sub_co_u32 s28, s15, s20
	s_cselect_b32 s33, -1, 0
	s_delay_alu instid0(SALU_CYCLE_1) | instskip(SKIP_1) | instid1(SALU_CYCLE_1)
	s_cmp_lg_u32 s33, 0
	s_sub_co_ci_u32 s26, s26, 0
	s_cmp_ge_u32 s26, s21
	s_cselect_b32 s33, -1, 0
	s_cmp_ge_u32 s28, s20
	s_cselect_b32 s28, -1, 0
	s_cmp_eq_u32 s26, s21
	s_cselect_b32 s26, s28, s33
	s_delay_alu instid0(SALU_CYCLE_1) | instskip(SKIP_4) | instid1(SALU_CYCLE_1)
	s_cmp_lg_u32 s26, 0
	s_cselect_b32 s26, s36, s34
	s_cselect_b32 s28, s37, s35
	s_cmp_lg_u32 s22, 0
	s_sub_co_ci_u32 s22, s27, s29
	s_cmp_ge_u32 s22, s21
	s_cselect_b32 s27, -1, 0
	s_cmp_ge_u32 s15, s20
	s_cselect_b32 s15, -1, 0
	s_cmp_eq_u32 s22, s21
	s_cselect_b32 s15, s15, s27
	s_delay_alu instid0(SALU_CYCLE_1) | instskip(SKIP_3) | instid1(SALU_CYCLE_1)
	s_cmp_lg_u32 s15, 0
	s_cselect_b32 s21, s28, s31
	s_cselect_b32 s20, s26, s30
	s_xor_b64 s[8:9], s[24:25], s[8:9]
	s_xor_b64 s[20:21], s[20:21], s[8:9]
	s_delay_alu instid0(SALU_CYCLE_1)
	s_sub_nc_u64 s[8:9], s[20:21], s[8:9]
	s_cbranch_execnz .LBB0_41
.LBB0_40:
	v_cvt_f32_u32_e32 v1, s12
	s_sub_co_i32 s9, 0, s12
	s_delay_alu instid0(VALU_DEP_1) | instskip(SKIP_1) | instid1(TRANS32_DEP_1)
	v_rcp_iflag_f32_e32 v1, v1
	v_nop
	v_mul_f32_e32 v1, 0x4f7ffffe, v1
	s_delay_alu instid0(VALU_DEP_1) | instskip(NEXT) | instid1(VALU_DEP_1)
	v_cvt_u32_f32_e32 v1, v1
	v_readfirstlane_b32 s8, v1
	s_mul_i32 s9, s9, s8
	s_delay_alu instid0(SALU_CYCLE_1) | instskip(NEXT) | instid1(SALU_CYCLE_1)
	s_mul_hi_u32 s9, s8, s9
	s_add_co_i32 s8, s8, s9
	s_delay_alu instid0(SALU_CYCLE_1) | instskip(NEXT) | instid1(SALU_CYCLE_1)
	s_mul_hi_u32 s8, s14, s8
	s_mul_i32 s9, s8, s12
	s_delay_alu instid0(SALU_CYCLE_1)
	s_sub_co_i32 s9, s14, s9
	s_add_co_i32 s14, s8, 1
	s_sub_co_i32 s15, s9, s12
	s_cmp_ge_u32 s9, s12
	s_cselect_b32 s8, s14, s8
	s_cselect_b32 s9, s15, s9
	s_add_co_i32 s14, s8, 1
	s_cmp_ge_u32 s9, s12
	s_mov_b32 s9, 0
	s_cselect_b32 s8, s14, s8
.LBB0_41:
	s_or_b64 s[14:15], s[2:3], s[12:13]
	s_delay_alu instid0(SALU_CYCLE_1) | instskip(NEXT) | instid1(SALU_CYCLE_1)
	s_and_b64 s[14:15], s[14:15], 0xffffffff00000000
	s_cmp_lg_u64 s[14:15], 0
	s_cbranch_scc0 .LBB0_51
; %bb.42:
	s_ashr_i32 s14, s13, 31
	s_delay_alu instid0(SALU_CYCLE_1) | instskip(NEXT) | instid1(SALU_CYCLE_1)
	s_mov_b32 s15, s14
	s_add_nc_u64 s[20:21], s[12:13], s[14:15]
	s_delay_alu instid0(SALU_CYCLE_1) | instskip(NEXT) | instid1(SALU_CYCLE_1)
	s_xor_b64 s[20:21], s[20:21], s[14:15]
	s_cvt_f32_u32 s22, s20
	s_cvt_f32_u32 s23, s21
	s_sub_nc_u64 s[26:27], 0, s[20:21]
	s_delay_alu instid0(SALU_CYCLE_2) | instskip(NEXT) | instid1(SALU_CYCLE_3)
	s_fmamk_f32 s22, s23, 0x4f800000, s22
	v_s_rcp_f32 s22, s22
	s_delay_alu instid0(TRANS32_DEP_1) | instskip(NEXT) | instid1(SALU_CYCLE_3)
	s_mul_f32 s22, s22, 0x5f7ffffc
	s_mul_f32 s23, s22, 0x2f800000
	s_delay_alu instid0(SALU_CYCLE_3) | instskip(NEXT) | instid1(SALU_CYCLE_3)
	s_trunc_f32 s23, s23
	s_fmamk_f32 s22, s23, 0xcf800000, s22
	s_cvt_u32_f32 s25, s23
	s_mov_b32 s23, 0
	s_delay_alu instid0(SALU_CYCLE_1) | instskip(NEXT) | instid1(SALU_CYCLE_3)
	s_cvt_u32_f32 s24, s22
	s_mul_u64 s[28:29], s[26:27], s[24:25]
	s_delay_alu instid0(SALU_CYCLE_1)
	s_mul_hi_u32 s31, s24, s29
	s_mul_i32 s30, s24, s29
	s_mul_hi_u32 s22, s24, s28
	s_mul_i32 s34, s25, s28
	s_add_nc_u64 s[30:31], s[22:23], s[30:31]
	s_mul_hi_u32 s33, s25, s28
	s_mul_hi_u32 s35, s25, s29
	s_add_co_u32 s22, s30, s34
	s_add_co_ci_u32 s22, s31, s33
	s_mul_i32 s28, s25, s29
	s_add_co_ci_u32 s29, s35, 0
	s_delay_alu instid0(SALU_CYCLE_1) | instskip(NEXT) | instid1(SALU_CYCLE_1)
	s_add_nc_u64 s[28:29], s[22:23], s[28:29]
	s_add_co_u32 s24, s24, s28
	s_cselect_b32 s22, -1, 0
	s_delay_alu instid0(SALU_CYCLE_1) | instskip(SKIP_1) | instid1(SALU_CYCLE_1)
	s_cmp_lg_u32 s22, 0
	s_add_co_ci_u32 s25, s25, s29
	s_mul_u64 s[26:27], s[26:27], s[24:25]
	s_delay_alu instid0(SALU_CYCLE_1)
	s_mul_hi_u32 s29, s24, s27
	s_mul_i32 s28, s24, s27
	s_mul_hi_u32 s22, s24, s26
	s_mul_i32 s31, s25, s26
	s_add_nc_u64 s[28:29], s[22:23], s[28:29]
	s_mul_hi_u32 s30, s25, s26
	s_mul_hi_u32 s33, s25, s27
	s_add_co_u32 s22, s28, s31
	s_add_co_ci_u32 s22, s29, s30
	s_mul_i32 s26, s25, s27
	s_add_co_ci_u32 s27, s33, 0
	s_delay_alu instid0(SALU_CYCLE_1) | instskip(NEXT) | instid1(SALU_CYCLE_1)
	s_add_nc_u64 s[26:27], s[22:23], s[26:27]
	s_add_co_u32 s30, s24, s26
	s_cselect_b32 s22, -1, 0
	s_delay_alu instid0(SALU_CYCLE_1) | instskip(SKIP_2) | instid1(SALU_CYCLE_1)
	s_cmp_lg_u32 s22, 0
	s_add_co_ci_u32 s31, s25, s27
	s_ashr_i32 s24, s3, 31
	s_mov_b32 s25, s24
	s_delay_alu instid0(SALU_CYCLE_1) | instskip(NEXT) | instid1(SALU_CYCLE_1)
	s_add_nc_u64 s[26:27], s[2:3], s[24:25]
	s_xor_b64 s[26:27], s[26:27], s[24:25]
	s_delay_alu instid0(SALU_CYCLE_1)
	s_mul_hi_u32 s29, s26, s31
	s_mul_i32 s28, s26, s31
	s_mul_hi_u32 s22, s26, s30
	s_mul_i32 s35, s27, s30
	s_add_nc_u64 s[28:29], s[22:23], s[28:29]
	s_mul_hi_u32 s34, s27, s30
	s_mul_hi_u32 s33, s27, s31
	s_add_co_u32 s22, s28, s35
	s_add_co_ci_u32 s22, s29, s34
	s_mul_i32 s30, s27, s31
	s_add_co_ci_u32 s31, s33, 0
	s_delay_alu instid0(SALU_CYCLE_1) | instskip(NEXT) | instid1(SALU_CYCLE_1)
	s_add_nc_u64 s[28:29], s[22:23], s[30:31]
	s_and_b64 s[30:31], s[28:29], 0xffffffff00000000
	s_delay_alu instid0(SALU_CYCLE_1) | instskip(NEXT) | instid1(SALU_CYCLE_1)
	s_or_b32 s30, s30, s28
	s_mul_u64 s[28:29], s[20:21], s[30:31]
	s_delay_alu instid0(SALU_CYCLE_1)
	s_sub_co_u32 s22, s26, s28
	s_cselect_b32 s26, -1, 0
	s_sub_co_i32 s28, s27, s29
	s_cmp_lg_u32 s26, 0
	s_sub_co_ci_u32 s28, s28, s21
	s_sub_co_u32 s33, s22, s20
	s_cselect_b32 s34, -1, 0
	s_delay_alu instid0(SALU_CYCLE_1) | instskip(SKIP_2) | instid1(SALU_CYCLE_1)
	s_cmp_lg_u32 s34, 0
	s_add_nc_u64 s[34:35], s[30:31], 1
	s_sub_co_ci_u32 s28, s28, 0
	s_cmp_ge_u32 s28, s21
	s_cselect_b32 s36, -1, 0
	s_cmp_ge_u32 s33, s20
	s_cselect_b32 s33, -1, 0
	s_cmp_eq_u32 s28, s21
	s_cselect_b32 s28, s33, s36
	s_add_nc_u64 s[36:37], s[30:31], 2
	s_cmp_lg_u32 s28, 0
	s_cselect_b32 s28, s36, s34
	s_cselect_b32 s33, s37, s35
	s_cmp_lg_u32 s26, 0
	s_sub_co_ci_u32 s26, s27, s29
	s_delay_alu instid0(SALU_CYCLE_1)
	s_cmp_ge_u32 s26, s21
	s_cselect_b32 s27, -1, 0
	s_cmp_ge_u32 s22, s20
	s_cselect_b32 s20, -1, 0
	s_cmp_eq_u32 s26, s21
	s_cselect_b32 s20, s20, s27
	s_delay_alu instid0(SALU_CYCLE_1) | instskip(SKIP_3) | instid1(SALU_CYCLE_1)
	s_cmp_lg_u32 s20, 0
	s_cselect_b32 s21, s33, s31
	s_cselect_b32 s20, s28, s30
	s_xor_b64 s[14:15], s[24:25], s[14:15]
	s_xor_b64 s[20:21], s[20:21], s[14:15]
	s_delay_alu instid0(SALU_CYCLE_1)
	s_sub_nc_u64 s[14:15], s[20:21], s[14:15]
	s_cbranch_execnz .LBB0_44
.LBB0_43:
	v_cvt_f32_u32_e32 v1, s12
	s_sub_co_i32 s15, 0, s12
	s_delay_alu instid0(VALU_DEP_1) | instskip(SKIP_1) | instid1(TRANS32_DEP_1)
	v_rcp_iflag_f32_e32 v1, v1
	v_nop
	v_mul_f32_e32 v1, 0x4f7ffffe, v1
	s_delay_alu instid0(VALU_DEP_1) | instskip(NEXT) | instid1(VALU_DEP_1)
	v_cvt_u32_f32_e32 v1, v1
	v_readfirstlane_b32 s14, v1
	s_mul_i32 s15, s15, s14
	s_delay_alu instid0(SALU_CYCLE_1) | instskip(NEXT) | instid1(SALU_CYCLE_1)
	s_mul_hi_u32 s15, s14, s15
	s_add_co_i32 s14, s14, s15
	s_delay_alu instid0(SALU_CYCLE_1) | instskip(NEXT) | instid1(SALU_CYCLE_1)
	s_mul_hi_u32 s14, s2, s14
	s_mul_i32 s15, s14, s12
	s_add_co_i32 s20, s14, 1
	s_sub_co_i32 s15, s2, s15
	s_delay_alu instid0(SALU_CYCLE_1)
	s_sub_co_i32 s21, s15, s12
	s_cmp_ge_u32 s15, s12
	s_cselect_b32 s14, s20, s14
	s_cselect_b32 s15, s21, s15
	s_add_co_i32 s20, s14, 1
	s_cmp_ge_u32 s15, s12
	s_mov_b32 s15, 0
	s_cselect_b32 s14, s20, s14
.LBB0_44:
	s_delay_alu instid0(SALU_CYCLE_1) | instskip(SKIP_1) | instid1(SALU_CYCLE_1)
	v_min_i64 v[2:3], s[14:15], s[0:1]
	s_mul_u64 s[0:1], s[8:9], s[12:13]
	s_add_nc_u64 s[10:11], s[0:1], s[10:11]
	v_cmp_gt_i64_e64 s0, s[0:1], s[2:3]
	v_cmp_ge_i64_e64 s1, s[2:3], s[10:11]
	s_or_b32 s0, s0, s1
	s_mov_b32 s1, 0
	v_cndmask_b32_e64 v1, 0, 1, s0
	s_delay_alu instid0(VALU_DEP_1) | instskip(SKIP_1) | instid1(SALU_CYCLE_1)
	v_readfirstlane_b32 s0, v1
	s_add_nc_u64 s[0:1], s[8:9], s[0:1]
	v_cmp_gt_i64_e32 vcc_lo, s[0:1], v[2:3]
	s_cbranch_vccnz .LBB0_47
; %bb.45:
	global_load_b32 v6, v0, s[4:5] scale_offset
	v_ashrrev_i32_e32 v1, 31, v0
	s_mul_u64 s[8:9], s[12:13], s[0:1]
	s_delay_alu instid0(SALU_CYCLE_1)
	s_sub_nc_u64 s[2:3], s[2:3], s[8:9]
	s_mul_u64 s[8:9], s[16:17], s[0:1]
	s_mul_u64 s[2:3], s[18:19], s[2:3]
	v_lshlrev_b64_e32 v[4:5], 2, v[0:1]
	s_lshl_b64 s[2:3], s[2:3], 2
	s_lshl_b64 s[8:9], s[8:9], 2
	s_add_nc_u64 s[0:1], s[0:1], -1
	s_add_nc_u64 s[2:3], s[2:3], s[8:9]
	s_delay_alu instid0(SALU_CYCLE_1)
	s_add_nc_u64 s[2:3], s[6:7], s[2:3]
	s_wait_xcnt 0x0
	v_add_nc_u64_e32 v[0:1], s[4:5], v[4:5]
	v_add_nc_u64_e32 v[4:5], s[2:3], v[4:5]
	s_mul_u64 s[2:3], s[12:13], s[18:19]
	s_lshl_b64 s[4:5], s[16:17], 2
	s_lshl_b64 s[2:3], s[2:3], 2
	s_delay_alu instid0(SALU_CYCLE_1)
	s_sub_nc_u64 s[2:3], s[4:5], s[2:3]
.LBB0_46:                               ; =>This Inner Loop Header: Depth=1
	global_load_b32 v7, v[4:5], off
	s_add_nc_u64 s[0:1], s[0:1], 1
	s_wait_xcnt 0x0
	v_add_nc_u64_e32 v[4:5], s[2:3], v[4:5]
	v_cmp_lt_i64_e32 vcc_lo, s[0:1], v[2:3]
	s_wait_loadcnt 0x0
	v_add_nc_u32_e32 v6, v7, v6
	global_store_b32 v[0:1], v6, off
	s_cbranch_vccnz .LBB0_46
.LBB0_47:
	s_endpgm
.LBB0_48:
                                        ; implicit-def: $sgpr20_sgpr21
	s_branch .LBB0_10
.LBB0_49:
                                        ; implicit-def: $sgpr20_sgpr21
	s_branch .LBB0_21
.LBB0_50:
                                        ; implicit-def: $sgpr20_sgpr21
	s_branch .LBB0_32
.LBB0_51:
                                        ; implicit-def: $sgpr14_sgpr15
	s_branch .LBB0_43
.LBB0_52:
                                        ; implicit-def: $sgpr14_sgpr15
	s_branch .LBB0_7
.LBB0_53:
                                        ; implicit-def: $sgpr14_sgpr15
	s_branch .LBB0_18
.LBB0_54:
                                        ; implicit-def: $sgpr14_sgpr15
	s_branch .LBB0_29
.LBB0_55:
                                        ; implicit-def: $sgpr8_sgpr9
	s_branch .LBB0_40
	.section	.rodata,"a",@progbits
	.p2align	6, 0x0
	.amdhsa_kernel _Z34unfold_backward_elementwise_kernelILi64ELi4EZ31unfold_backward_internal_kernelIiEvPT_PKS1_PKlllllllEUliE_EviT1_
		.amdhsa_group_segment_fixed_size 0
		.amdhsa_private_segment_fixed_size 0
		.amdhsa_kernarg_size 72
		.amdhsa_user_sgpr_count 2
		.amdhsa_user_sgpr_dispatch_ptr 0
		.amdhsa_user_sgpr_queue_ptr 0
		.amdhsa_user_sgpr_kernarg_segment_ptr 1
		.amdhsa_user_sgpr_dispatch_id 0
		.amdhsa_user_sgpr_kernarg_preload_length 0
		.amdhsa_user_sgpr_kernarg_preload_offset 0
		.amdhsa_user_sgpr_private_segment_size 0
		.amdhsa_wavefront_size32 1
		.amdhsa_uses_dynamic_stack 0
		.amdhsa_enable_private_segment 0
		.amdhsa_system_sgpr_workgroup_id_x 1
		.amdhsa_system_sgpr_workgroup_id_y 0
		.amdhsa_system_sgpr_workgroup_id_z 0
		.amdhsa_system_sgpr_workgroup_info 0
		.amdhsa_system_vgpr_workitem_id 0
		.amdhsa_next_free_vgpr 9
		.amdhsa_next_free_sgpr 42
		.amdhsa_named_barrier_count 0
		.amdhsa_reserve_vcc 1
		.amdhsa_float_round_mode_32 0
		.amdhsa_float_round_mode_16_64 0
		.amdhsa_float_denorm_mode_32 3
		.amdhsa_float_denorm_mode_16_64 3
		.amdhsa_fp16_overflow 0
		.amdhsa_memory_ordered 1
		.amdhsa_forward_progress 1
		.amdhsa_inst_pref_size 53
		.amdhsa_round_robin_scheduling 0
		.amdhsa_exception_fp_ieee_invalid_op 0
		.amdhsa_exception_fp_denorm_src 0
		.amdhsa_exception_fp_ieee_div_zero 0
		.amdhsa_exception_fp_ieee_overflow 0
		.amdhsa_exception_fp_ieee_underflow 0
		.amdhsa_exception_fp_ieee_inexact 0
		.amdhsa_exception_int_div_zero 0
	.end_amdhsa_kernel
	.section	.text._Z34unfold_backward_elementwise_kernelILi64ELi4EZ31unfold_backward_internal_kernelIiEvPT_PKS1_PKlllllllEUliE_EviT1_,"axG",@progbits,_Z34unfold_backward_elementwise_kernelILi64ELi4EZ31unfold_backward_internal_kernelIiEvPT_PKS1_PKlllllllEUliE_EviT1_,comdat
.Lfunc_end0:
	.size	_Z34unfold_backward_elementwise_kernelILi64ELi4EZ31unfold_backward_internal_kernelIiEvPT_PKS1_PKlllllllEUliE_EviT1_, .Lfunc_end0-_Z34unfold_backward_elementwise_kernelILi64ELi4EZ31unfold_backward_internal_kernelIiEvPT_PKS1_PKlllllllEUliE_EviT1_
                                        ; -- End function
	.set _Z34unfold_backward_elementwise_kernelILi64ELi4EZ31unfold_backward_internal_kernelIiEvPT_PKS1_PKlllllllEUliE_EviT1_.num_vgpr, 9
	.set _Z34unfold_backward_elementwise_kernelILi64ELi4EZ31unfold_backward_internal_kernelIiEvPT_PKS1_PKlllllllEUliE_EviT1_.num_agpr, 0
	.set _Z34unfold_backward_elementwise_kernelILi64ELi4EZ31unfold_backward_internal_kernelIiEvPT_PKS1_PKlllllllEUliE_EviT1_.numbered_sgpr, 42
	.set _Z34unfold_backward_elementwise_kernelILi64ELi4EZ31unfold_backward_internal_kernelIiEvPT_PKS1_PKlllllllEUliE_EviT1_.num_named_barrier, 0
	.set _Z34unfold_backward_elementwise_kernelILi64ELi4EZ31unfold_backward_internal_kernelIiEvPT_PKS1_PKlllllllEUliE_EviT1_.private_seg_size, 0
	.set _Z34unfold_backward_elementwise_kernelILi64ELi4EZ31unfold_backward_internal_kernelIiEvPT_PKS1_PKlllllllEUliE_EviT1_.uses_vcc, 1
	.set _Z34unfold_backward_elementwise_kernelILi64ELi4EZ31unfold_backward_internal_kernelIiEvPT_PKS1_PKlllllllEUliE_EviT1_.uses_flat_scratch, 0
	.set _Z34unfold_backward_elementwise_kernelILi64ELi4EZ31unfold_backward_internal_kernelIiEvPT_PKS1_PKlllllllEUliE_EviT1_.has_dyn_sized_stack, 0
	.set _Z34unfold_backward_elementwise_kernelILi64ELi4EZ31unfold_backward_internal_kernelIiEvPT_PKS1_PKlllllllEUliE_EviT1_.has_recursion, 0
	.set _Z34unfold_backward_elementwise_kernelILi64ELi4EZ31unfold_backward_internal_kernelIiEvPT_PKS1_PKlllllllEUliE_EviT1_.has_indirect_call, 0
	.section	.AMDGPU.csdata,"",@progbits
; Kernel info:
; codeLenInByte = 6660
; TotalNumSgprs: 44
; NumVgprs: 9
; ScratchSize: 0
; MemoryBound: 0
; FloatMode: 240
; IeeeMode: 1
; LDSByteSize: 0 bytes/workgroup (compile time only)
; SGPRBlocks: 0
; VGPRBlocks: 0
; NumSGPRsForWavesPerEU: 44
; NumVGPRsForWavesPerEU: 9
; NamedBarCnt: 0
; Occupancy: 16
; WaveLimiterHint : 0
; COMPUTE_PGM_RSRC2:SCRATCH_EN: 0
; COMPUTE_PGM_RSRC2:USER_SGPR: 2
; COMPUTE_PGM_RSRC2:TRAP_HANDLER: 0
; COMPUTE_PGM_RSRC2:TGID_X_EN: 1
; COMPUTE_PGM_RSRC2:TGID_Y_EN: 0
; COMPUTE_PGM_RSRC2:TGID_Z_EN: 0
; COMPUTE_PGM_RSRC2:TIDIG_COMP_CNT: 0
	.section	.AMDGPU.gpr_maximums,"",@progbits
	.set amdgpu.max_num_vgpr, 0
	.set amdgpu.max_num_agpr, 0
	.set amdgpu.max_num_sgpr, 0
	.section	.AMDGPU.csdata,"",@progbits
	.type	__hip_cuid_1770789eee3bd460,@object ; @__hip_cuid_1770789eee3bd460
	.section	.bss,"aw",@nobits
	.globl	__hip_cuid_1770789eee3bd460
__hip_cuid_1770789eee3bd460:
	.byte	0                               ; 0x0
	.size	__hip_cuid_1770789eee3bd460, 1

	.ident	"AMD clang version 22.0.0git (https://github.com/RadeonOpenCompute/llvm-project roc-7.2.4 26084 f58b06dce1f9c15707c5f808fd002e18c2accf7e)"
	.section	".note.GNU-stack","",@progbits
	.addrsig
	.addrsig_sym __hip_cuid_1770789eee3bd460
	.amdgpu_metadata
---
amdhsa.kernels:
  - .args:
      - .offset:         0
        .size:           4
        .value_kind:     by_value
      - .offset:         8
        .size:           64
        .value_kind:     by_value
    .group_segment_fixed_size: 0
    .kernarg_segment_align: 8
    .kernarg_segment_size: 72
    .language:       OpenCL C
    .language_version:
      - 2
      - 0
    .max_flat_workgroup_size: 1024
    .name:           _Z34unfold_backward_elementwise_kernelILi64ELi4EZ31unfold_backward_internal_kernelIiEvPT_PKS1_PKlllllllEUliE_EviT1_
    .private_segment_fixed_size: 0
    .sgpr_count:     44
    .sgpr_spill_count: 0
    .symbol:         _Z34unfold_backward_elementwise_kernelILi64ELi4EZ31unfold_backward_internal_kernelIiEvPT_PKS1_PKlllllllEUliE_EviT1_.kd
    .uniform_work_group_size: 1
    .uses_dynamic_stack: false
    .vgpr_count:     9
    .vgpr_spill_count: 0
    .wavefront_size: 32
amdhsa.target:   amdgcn-amd-amdhsa--gfx1250
amdhsa.version:
  - 1
  - 2
...

	.end_amdgpu_metadata
